;; amdgpu-corpus repo=ROCm/rocFFT kind=compiled arch=gfx906 opt=O3
	.text
	.amdgcn_target "amdgcn-amd-amdhsa--gfx906"
	.amdhsa_code_object_version 6
	.protected	bluestein_single_back_len153_dim1_sp_op_CI_CI ; -- Begin function bluestein_single_back_len153_dim1_sp_op_CI_CI
	.globl	bluestein_single_back_len153_dim1_sp_op_CI_CI
	.p2align	8
	.type	bluestein_single_back_len153_dim1_sp_op_CI_CI,@function
bluestein_single_back_len153_dim1_sp_op_CI_CI: ; @bluestein_single_back_len153_dim1_sp_op_CI_CI
; %bb.0:
	v_mul_u32_u24_e32 v1, 0xf10, v0
	s_load_dwordx4 s[0:3], s[4:5], 0x28
	v_lshrrev_b32_e32 v1, 16, v1
	v_mad_u64_u32 v[48:49], s[6:7], s6, 7, v[1:2]
	v_mov_b32_e32 v49, 0
	s_waitcnt lgkmcnt(0)
	v_cmp_gt_u64_e32 vcc, s[0:1], v[48:49]
	s_and_saveexec_b64 s[0:1], vcc
	s_cbranch_execz .LBB0_15
; %bb.1:
	s_mov_b32 s0, 0x24924925
	v_mul_hi_u32 v2, v48, s0
	s_load_dwordx2 s[6:7], s[4:5], 0x0
	s_load_dwordx2 s[12:13], s[4:5], 0x38
	v_mul_lo_u16_e32 v1, 17, v1
	v_sub_u16_e32 v63, v0, v1
	v_sub_u32_e32 v3, v48, v2
	v_lshrrev_b32_e32 v3, 1, v3
	v_add_u32_e32 v2, v3, v2
	v_lshrrev_b32_e32 v2, 2, v2
	v_mul_lo_u32 v2, v2, 7
	v_cmp_gt_u16_e32 vcc, 9, v63
	v_lshlrev_b32_e32 v64, 3, v63
	v_sub_u32_e32 v0, v48, v2
	v_mul_u32_u24_e32 v65, 0x99, v0
	v_lshlrev_b32_e32 v66, 3, v65
	s_and_saveexec_b64 s[14:15], vcc
	s_cbranch_execz .LBB0_3
; %bb.2:
	s_load_dwordx2 s[0:1], s[4:5], 0x18
	v_or_b32_e32 v67, 0x90, v63
	v_add_u32_e32 v76, v66, v64
	s_waitcnt lgkmcnt(0)
	s_load_dwordx4 s[8:11], s[0:1], 0x0
	s_waitcnt lgkmcnt(0)
	v_mad_u64_u32 v[0:1], s[0:1], s10, v48, 0
	v_mad_u64_u32 v[2:3], s[0:1], s8, v63, 0
	;; [unrolled: 1-line block ×4, first 2 shown]
	v_mov_b32_e32 v1, v4
	v_lshlrev_b64 v[0:1], 3, v[0:1]
	v_mov_b32_e32 v3, v5
	v_mov_b32_e32 v6, s3
	v_lshlrev_b64 v[2:3], 3, v[2:3]
	v_add_co_u32_e64 v74, s[0:1], s2, v0
	v_addc_co_u32_e64 v75, s[0:1], v6, v1, s[0:1]
	v_add_co_u32_e64 v0, s[0:1], v74, v2
	v_addc_co_u32_e64 v1, s[0:1], v75, v3, s[0:1]
	s_mul_i32 s0, s9, 0x48
	s_mul_hi_u32 s3, s8, 0x48
	s_add_i32 s3, s3, s0
	s_mul_i32 s2, s8, 0x48
	v_mov_b32_e32 v3, s3
	v_add_co_u32_e64 v2, s[0:1], s2, v0
	v_addc_co_u32_e64 v3, s[0:1], v1, v3, s[0:1]
	v_mov_b32_e32 v5, s3
	v_add_co_u32_e64 v4, s[0:1], s2, v2
	v_addc_co_u32_e64 v5, s[0:1], v3, v5, s[0:1]
	;; [unrolled: 3-line block ×3, first 2 shown]
	global_load_dwordx2 v[8:9], v[0:1], off
	global_load_dwordx2 v[10:11], v[2:3], off
	;; [unrolled: 1-line block ×4, first 2 shown]
	global_load_dwordx2 v[16:17], v64, s[6:7]
	global_load_dwordx2 v[18:19], v64, s[6:7] offset:72
	global_load_dwordx2 v[20:21], v64, s[6:7] offset:144
	;; [unrolled: 1-line block ×3, first 2 shown]
	v_mov_b32_e32 v1, s3
	v_add_co_u32_e64 v0, s[0:1], s2, v6
	v_addc_co_u32_e64 v1, s[0:1], v7, v1, s[0:1]
	global_load_dwordx2 v[2:3], v[0:1], off
	global_load_dwordx2 v[4:5], v64, s[6:7] offset:288
	global_load_dwordx2 v[6:7], v64, s[6:7] offset:360
	;; [unrolled: 1-line block ×4, first 2 shown]
	v_mov_b32_e32 v28, s3
	v_add_co_u32_e64 v0, s[0:1], s2, v0
	v_addc_co_u32_e64 v1, s[0:1], v1, v28, s[0:1]
	v_mov_b32_e32 v30, s3
	global_load_dwordx2 v[28:29], v[0:1], off
	v_add_co_u32_e64 v0, s[0:1], s2, v0
	v_addc_co_u32_e64 v1, s[0:1], v1, v30, s[0:1]
	v_mov_b32_e32 v32, s3
	global_load_dwordx2 v[30:31], v[0:1], off
	;; [unrolled: 4-line block ×3, first 2 shown]
	v_add_co_u32_e64 v0, s[0:1], s2, v0
	v_addc_co_u32_e64 v1, s[0:1], v1, v34, s[0:1]
	global_load_dwordx2 v[34:35], v[0:1], off
	v_mov_b32_e32 v36, s3
	v_add_co_u32_e64 v0, s[0:1], s2, v0
	v_addc_co_u32_e64 v1, s[0:1], v1, v36, s[0:1]
	global_load_dwordx2 v[36:37], v[0:1], off
	v_mov_b32_e32 v38, s3
	;; [unrolled: 4-line block ×3, first 2 shown]
	v_add_co_u32_e64 v0, s[0:1], s2, v0
	v_addc_co_u32_e64 v1, s[0:1], v1, v40, s[0:1]
	global_load_dwordx2 v[40:41], v[0:1], off
	global_load_dwordx2 v[42:43], v64, s[6:7] offset:576
	global_load_dwordx2 v[44:45], v64, s[6:7] offset:648
	;; [unrolled: 1-line block ×4, first 2 shown]
	v_mov_b32_e32 v51, s3
	v_add_co_u32_e64 v0, s[0:1], s2, v0
	v_addc_co_u32_e64 v1, s[0:1], v1, v51, s[0:1]
	global_load_dwordx2 v[51:52], v[0:1], off
	global_load_dwordx2 v[53:54], v64, s[6:7] offset:864
	v_mov_b32_e32 v55, s3
	v_add_co_u32_e64 v0, s[0:1], s2, v0
	v_addc_co_u32_e64 v1, s[0:1], v1, v55, s[0:1]
	global_load_dwordx2 v[55:56], v[0:1], off
	v_mov_b32_e32 v57, s3
	v_add_co_u32_e64 v0, s[0:1], s2, v0
	v_addc_co_u32_e64 v1, s[0:1], v1, v57, s[0:1]
	v_mad_u64_u32 v[59:60], s[0:1], s8, v67, 0
	global_load_dwordx2 v[57:58], v[0:1], off
	v_mov_b32_e32 v61, s3
	v_add_co_u32_e64 v0, s[0:1], s2, v0
	v_addc_co_u32_e64 v1, s[0:1], v1, v61, s[0:1]
	global_load_dwordx2 v[61:62], v64, s[6:7] offset:936
	s_waitcnt vmcnt(0)
	v_mad_u64_u32 v[67:68], s[0:1], s9, v67, v[60:61]
	global_load_dwordx2 v[68:69], v[0:1], off
	global_load_dwordx2 v[70:71], v64, s[6:7] offset:1008
	global_load_dwordx2 v[72:73], v64, s[6:7] offset:1080
	v_mov_b32_e32 v60, v67
	v_lshlrev_b64 v[0:1], 3, v[59:60]
	v_lshl_add_u32 v67, v63, 3, v66
	v_add_co_u32_e64 v0, s[0:1], v74, v0
	v_addc_co_u32_e64 v1, s[0:1], v75, v1, s[0:1]
	global_load_dwordx2 v[59:60], v[0:1], off
	global_load_dwordx2 v[74:75], v64, s[6:7] offset:1152
	v_mul_f32_e32 v0, v9, v17
	v_mul_f32_e32 v1, v8, v17
	v_fmac_f32_e32 v0, v8, v16
	v_fma_f32 v1, v9, v16, -v1
	v_mul_f32_e32 v8, v11, v19
	v_mul_f32_e32 v9, v10, v19
	ds_write_b64 v67, v[0:1]
	v_mul_f32_e32 v0, v13, v21
	v_mul_f32_e32 v1, v12, v21
	v_fmac_f32_e32 v8, v10, v18
	v_fma_f32 v9, v11, v18, -v9
	v_fmac_f32_e32 v0, v12, v20
	v_fma_f32 v1, v13, v20, -v1
	v_mul_f32_e32 v10, v15, v23
	v_mul_f32_e32 v11, v14, v23
	ds_write2_b64 v76, v[8:9], v[0:1] offset0:9 offset1:18
	v_mul_f32_e32 v0, v3, v5
	v_mul_f32_e32 v1, v2, v5
	v_fmac_f32_e32 v10, v14, v22
	v_fma_f32 v11, v15, v22, -v11
	v_fmac_f32_e32 v0, v2, v4
	v_fma_f32 v1, v3, v4, -v1
	ds_write2_b64 v76, v[10:11], v[0:1] offset0:27 offset1:36
	v_mul_f32_e32 v0, v29, v7
	v_mul_f32_e32 v1, v28, v7
	v_mul_f32_e32 v2, v31, v25
	v_mul_f32_e32 v3, v30, v25
	v_fmac_f32_e32 v0, v28, v6
	v_fma_f32 v1, v29, v6, -v1
	v_fmac_f32_e32 v2, v30, v24
	v_fma_f32 v3, v31, v24, -v3
	ds_write2_b64 v76, v[0:1], v[2:3] offset0:45 offset1:54
	v_mul_f32_e32 v0, v33, v27
	v_mul_f32_e32 v1, v32, v27
	;; [unrolled: 9-line block ×5, first 2 shown]
	v_fmac_f32_e32 v0, v55, v61
	v_fma_f32 v1, v56, v61, -v1
	s_waitcnt vmcnt(3)
	v_mul_f32_e32 v2, v58, v71
	v_mul_f32_e32 v3, v57, v71
	v_fmac_f32_e32 v2, v57, v70
	v_fma_f32 v3, v58, v70, -v3
	ds_write2_b64 v76, v[0:1], v[2:3] offset0:117 offset1:126
	s_waitcnt vmcnt(2)
	v_mul_f32_e32 v0, v69, v73
	v_mul_f32_e32 v1, v68, v73
	v_fmac_f32_e32 v0, v68, v72
	v_fma_f32 v1, v69, v72, -v1
	s_waitcnt vmcnt(0)
	v_mul_f32_e32 v2, v60, v75
	v_mul_f32_e32 v3, v59, v75
	v_fmac_f32_e32 v2, v59, v74
	v_fma_f32 v3, v60, v74, -v3
	ds_write2_b64 v76, v[0:1], v[2:3] offset0:135 offset1:144
.LBB0_3:
	s_or_b64 exec, exec, s[14:15]
	s_load_dwordx2 s[0:1], s[4:5], 0x20
	s_load_dwordx2 s[8:9], s[4:5], 0x8
	v_mov_b32_e32 v16, 0
	v_mov_b32_e32 v17, 0
	s_waitcnt lgkmcnt(0)
	s_barrier
	s_waitcnt lgkmcnt(0)
                                        ; implicit-def: $vgpr23
                                        ; implicit-def: $vgpr24
                                        ; implicit-def: $vgpr40
                                        ; implicit-def: $vgpr44
                                        ; implicit-def: $vgpr12
                                        ; implicit-def: $vgpr38
                                        ; implicit-def: $vgpr34
                                        ; implicit-def: $vgpr30
	s_and_saveexec_b64 s[2:3], vcc
	s_cbranch_execz .LBB0_5
; %bb.4:
	v_lshl_add_u32 v0, v65, 3, v64
	ds_read2_b64 v[16:19], v0 offset1:9
	ds_read2_b64 v[28:31], v0 offset0:18 offset1:27
	ds_read2_b64 v[32:35], v0 offset0:36 offset1:45
	;; [unrolled: 1-line block ×7, first 2 shown]
	ds_read_b64 v[12:13], v0 offset:1152
.LBB0_5:
	s_or_b64 exec, exec, s[2:3]
	s_waitcnt lgkmcnt(0)
	v_sub_f32_e32 v15, v19, v13
	v_mul_f32_e32 v51, 0xbeb8f4ab, v15
	v_sub_f32_e32 v100, v29, v47
	v_add_f32_e32 v70, v12, v18
	v_sub_f32_e32 v14, v18, v12
	v_mov_b32_e32 v0, v51
	v_mul_f32_e32 v53, 0xbf2c7751, v100
	v_add_f32_e32 v71, v13, v19
	s_mov_b32 s5, 0x3f6eb680
	v_mul_f32_e32 v52, 0xbeb8f4ab, v14
	v_fmac_f32_e32 v0, 0x3f6eb680, v70
	v_add_f32_e32 v74, v46, v28
	v_sub_f32_e32 v67, v28, v46
	v_mov_b32_e32 v2, v53
	v_add_f32_e32 v0, v0, v16
	v_fma_f32 v1, v71, s5, -v52
	s_mov_b32 s4, 0x3f3d2fb0
	v_add_f32_e32 v75, v47, v29
	v_mul_f32_e32 v54, 0xbf2c7751, v67
	v_fmac_f32_e32 v2, 0x3f3d2fb0, v74
	v_sub_f32_e32 v113, v31, v45
	v_add_f32_e32 v1, v1, v17
	v_add_f32_e32 v0, v2, v0
	v_fma_f32 v2, v75, s4, -v54
	v_mul_f32_e32 v55, 0xbf65296c, v113
	v_add_f32_e32 v1, v2, v1
	v_add_f32_e32 v91, v44, v30
	v_sub_f32_e32 v111, v30, v44
	v_mov_b32_e32 v2, v55
	s_mov_b32 s3, 0x3ee437d1
	v_add_f32_e32 v92, v45, v31
	v_mul_f32_e32 v56, 0xbf65296c, v111
	v_fmac_f32_e32 v2, 0x3ee437d1, v91
	v_sub_f32_e32 v126, v33, v43
	v_add_f32_e32 v0, v2, v0
	v_fma_f32 v2, v92, s3, -v56
	v_mul_f32_e32 v57, 0xbf7ee86f, v126
	v_add_f32_e32 v1, v2, v1
	v_add_f32_e32 v78, v42, v32
	v_mov_b32_e32 v2, v57
	v_sub_f32_e32 v127, v32, v42
	s_mov_b32 s2, 0x3dbcf732
	v_add_f32_e32 v79, v43, v33
	v_fmac_f32_e32 v2, 0x3dbcf732, v78
	v_mul_f32_e32 v58, 0xbf7ee86f, v127
	v_sub_f32_e32 v141, v35, v41
	v_add_f32_e32 v0, v2, v0
	v_fma_f32 v2, v79, s2, -v58
	v_mul_f32_e32 v59, 0xbf763a35, v141
	v_add_f32_e32 v1, v2, v1
	v_add_f32_e32 v86, v40, v34
	v_mov_b32_e32 v2, v59
	v_sub_f32_e32 v142, v34, v40
	v_fmac_f32_e32 v2, 0xbe8c1d8e, v86
	s_mov_b32 s10, 0xbe8c1d8e
	v_add_f32_e32 v94, v41, v35
	v_mul_f32_e32 v60, 0xbf763a35, v142
	v_sub_f32_e32 v151, v37, v27
	v_add_f32_e32 v0, v2, v0
	v_fma_f32 v2, v94, s10, -v60
	v_mul_f32_e32 v61, 0xbf4c4adb, v151
	v_add_f32_e32 v1, v2, v1
	v_add_f32_e32 v98, v26, v36
	v_mov_b32_e32 v2, v61
	v_sub_f32_e32 v152, v36, v26
	v_fmac_f32_e32 v2, 0xbf1a4643, v98
	s_mov_b32 s11, 0xbf1a4643
	v_add_f32_e32 v99, v27, v37
	;; [unrolled: 12-line block ×3, first 2 shown]
	v_mul_f32_e32 v69, 0xbf06c442, v200
	v_sub_f32_e32 v201, v21, v23
	v_add_f32_e32 v0, v2, v0
	v_fma_f32 v2, v109, s14, -v69
	v_mul_f32_e32 v72, 0xbe3c28d5, v201
	v_add_f32_e32 v1, v2, v1
	v_add_f32_e32 v112, v22, v20
	v_mov_b32_e32 v2, v72
	v_sub_f32_e32 v202, v20, v22
	s_mov_b32 s15, 0xbf7ba420
	v_fmac_f32_e32 v2, 0xbf7ba420, v112
	v_add_f32_e32 v118, v23, v21
	v_mul_f32_e32 v73, 0xbe3c28d5, v202
	v_add_f32_e32 v49, v2, v0
	v_fma_f32 v0, v118, s15, -v73
	v_mul_f32_e32 v76, 0xbf2c7751, v15
	v_add_f32_e32 v50, v0, v1
	v_mov_b32_e32 v0, v76
	v_mul_f32_e32 v77, 0xbf7ee86f, v100
	v_fmac_f32_e32 v0, 0x3f3d2fb0, v70
	v_mov_b32_e32 v1, v77
	v_add_f32_e32 v0, v0, v16
	v_fmac_f32_e32 v1, 0x3dbcf732, v74
	v_mul_f32_e32 v83, 0xbf2c7751, v14
	v_add_f32_e32 v0, v1, v0
	v_fma_f32 v1, v71, s4, -v83
	v_mul_f32_e32 v84, 0xbf7ee86f, v67
	v_add_f32_e32 v1, v1, v17
	v_fma_f32 v2, v75, s2, -v84
	v_mul_f32_e32 v80, 0xbf4c4adb, v113
	v_add_f32_e32 v1, v2, v1
	v_mov_b32_e32 v2, v80
	v_fmac_f32_e32 v2, 0xbf1a4643, v91
	v_mul_f32_e32 v87, 0xbf4c4adb, v111
	v_add_f32_e32 v0, v2, v0
	v_fma_f32 v2, v92, s11, -v87
	v_mul_f32_e32 v81, 0xbe3c28d5, v126
	v_add_f32_e32 v1, v2, v1
	v_mov_b32_e32 v2, v81
	v_fmac_f32_e32 v2, 0xbf7ba420, v78
	;; [unrolled: 7-line block ×6, first 2 shown]
	v_mul_f32_e32 v97, 0x3eb8f4ab, v202
	v_mul_f32_e32 v101, 0xbf65296c, v15
	v_fma_f32 v3, v118, s5, -v97
	v_add_f32_e32 v2, v2, v0
	v_mov_b32_e32 v0, v101
	v_mul_f32_e32 v102, 0xbf4c4adb, v100
	v_add_f32_e32 v3, v3, v1
	v_fmac_f32_e32 v0, 0x3ee437d1, v70
	v_mov_b32_e32 v1, v102
	v_add_f32_e32 v0, v0, v16
	v_fmac_f32_e32 v1, 0xbf1a4643, v74
	v_mul_f32_e32 v104, 0x3e3c28d5, v113
	v_add_f32_e32 v0, v1, v0
	v_mov_b32_e32 v1, v104
	v_fmac_f32_e32 v1, 0xbf7ba420, v91
	v_mul_f32_e32 v105, 0x3f763a35, v126
	v_add_f32_e32 v0, v1, v0
	v_mov_b32_e32 v1, v105
	;; [unrolled: 4-line block ×6, first 2 shown]
	v_fmac_f32_e32 v1, 0xbf59a7d5, v112
	v_mul_f32_e32 v114, 0xbf65296c, v14
	v_add_f32_e32 v0, v1, v0
	v_fma_f32 v1, v71, s3, -v114
	v_mul_f32_e32 v115, 0xbf4c4adb, v67
	v_add_f32_e32 v1, v1, v17
	v_fma_f32 v4, v75, s11, -v115
	;; [unrolled: 3-line block ×8, first 2 shown]
	v_mul_f32_e32 v123, 0xbf7ee86f, v15
	v_add_f32_e32 v1, v4, v1
	v_mov_b32_e32 v4, v123
	v_mul_f32_e32 v124, 0xbe3c28d5, v100
	v_fmac_f32_e32 v4, 0x3dbcf732, v70
	v_mov_b32_e32 v5, v124
	v_add_f32_e32 v4, v4, v16
	v_fmac_f32_e32 v5, 0xbf7ba420, v74
	v_mul_f32_e32 v130, 0xbf7ee86f, v14
	v_add_f32_e32 v4, v5, v4
	v_fma_f32 v5, v71, s2, -v130
	v_mul_f32_e32 v131, 0xbe3c28d5, v67
	v_add_f32_e32 v5, v5, v17
	v_fma_f32 v6, v75, s15, -v131
	v_mul_f32_e32 v125, 0x3f763a35, v113
	v_add_f32_e32 v5, v6, v5
	v_mov_b32_e32 v6, v125
	v_fmac_f32_e32 v6, 0xbe8c1d8e, v91
	v_mul_f32_e32 v133, 0x3f763a35, v111
	v_add_f32_e32 v4, v6, v4
	v_fma_f32 v6, v92, s10, -v133
	v_mul_f32_e32 v128, 0x3eb8f4ab, v126
	v_add_f32_e32 v5, v6, v5
	v_mov_b32_e32 v6, v128
	v_fmac_f32_e32 v6, 0x3f6eb680, v78
	;; [unrolled: 7-line block ×6, first 2 shown]
	v_mul_f32_e32 v140, 0x3f2c7751, v202
	v_mul_f32_e32 v143, 0xbf763a35, v15
	v_fma_f32 v7, v118, s4, -v140
	v_add_f32_e32 v6, v6, v4
	v_mov_b32_e32 v4, v143
	v_mul_f32_e32 v144, 0x3f06c442, v100
	v_add_f32_e32 v7, v7, v5
	v_fmac_f32_e32 v4, 0xbe8c1d8e, v70
	v_mov_b32_e32 v5, v144
	v_add_f32_e32 v4, v4, v16
	v_fmac_f32_e32 v5, 0xbf59a7d5, v74
	v_mul_f32_e32 v145, 0x3f2c7751, v113
	v_add_f32_e32 v4, v5, v4
	v_mov_b32_e32 v5, v145
	v_fmac_f32_e32 v5, 0x3f3d2fb0, v91
	v_mul_f32_e32 v146, 0xbf65296c, v126
	v_add_f32_e32 v4, v5, v4
	v_mov_b32_e32 v5, v146
	;; [unrolled: 4-line block ×6, first 2 shown]
	v_fmac_f32_e32 v5, 0xbf1a4643, v112
	v_mul_f32_e32 v153, 0xbf763a35, v14
	v_add_f32_e32 v4, v5, v4
	v_fma_f32 v5, v71, s10, -v153
	v_mul_f32_e32 v154, 0x3f06c442, v67
	v_add_f32_e32 v5, v5, v17
	v_fma_f32 v8, v75, s14, -v154
	;; [unrolled: 3-line block ×8, first 2 shown]
	v_mul_f32_e32 v161, 0xbf4c4adb, v15
	v_add_f32_e32 v5, v8, v5
	v_mov_b32_e32 v8, v161
	v_mul_f32_e32 v162, 0x3f763a35, v100
	v_fmac_f32_e32 v8, 0xbf1a4643, v70
	v_mov_b32_e32 v9, v162
	v_add_f32_e32 v8, v8, v16
	v_fmac_f32_e32 v9, 0xbe8c1d8e, v74
	v_mul_f32_e32 v166, 0xbf4c4adb, v14
	v_add_f32_e32 v8, v9, v8
	v_fma_f32 v9, v71, s11, -v166
	v_mul_f32_e32 v167, 0x3f763a35, v67
	v_add_f32_e32 v9, v9, v17
	v_fma_f32 v10, v75, s10, -v167
	v_mul_f32_e32 v163, 0xbeb8f4ab, v113
	v_add_f32_e32 v9, v10, v9
	v_mov_b32_e32 v10, v163
	v_fmac_f32_e32 v10, 0x3f6eb680, v91
	v_mul_f32_e32 v169, 0xbeb8f4ab, v111
	v_add_f32_e32 v8, v10, v8
	v_fma_f32 v10, v92, s5, -v169
	v_mul_f32_e32 v164, 0xbf06c442, v126
	v_add_f32_e32 v9, v10, v9
	v_mov_b32_e32 v10, v164
	v_fmac_f32_e32 v10, 0xbf59a7d5, v78
	;; [unrolled: 7-line block ×6, first 2 shown]
	v_mul_f32_e32 v176, 0x3f65296c, v202
	v_mul_f32_e32 v183, 0xbf06c442, v15
	v_fma_f32 v11, v118, s3, -v176
	v_add_f32_e32 v10, v10, v8
	v_mov_b32_e32 v8, v183
	v_mul_f32_e32 v184, 0x3f65296c, v100
	v_add_f32_e32 v11, v11, v9
	v_fmac_f32_e32 v8, 0xbf59a7d5, v70
	v_mov_b32_e32 v9, v184
	v_add_f32_e32 v8, v8, v16
	v_fmac_f32_e32 v9, 0x3ee437d1, v74
	v_mul_f32_e32 v177, 0xbf7ee86f, v113
	v_add_f32_e32 v8, v9, v8
	v_mov_b32_e32 v9, v177
	v_fmac_f32_e32 v9, 0x3dbcf732, v91
	v_mul_f32_e32 v178, 0x3f4c4adb, v126
	v_add_f32_e32 v8, v9, v8
	v_mov_b32_e32 v9, v178
	;; [unrolled: 4-line block ×6, first 2 shown]
	v_fmac_f32_e32 v9, 0xbe8c1d8e, v112
	v_mul_f32_e32 v191, 0xbf06c442, v14
	v_add_f32_e32 v8, v9, v8
	v_fma_f32 v9, v71, s14, -v191
	v_mul_f32_e32 v192, 0x3f65296c, v67
	v_add_f32_e32 v9, v9, v17
	v_fma_f32 v185, v75, s3, -v192
	;; [unrolled: 3-line block ×7, first 2 shown]
	v_add_f32_e32 v9, v185, v9
	v_mul_f32_e32 v185, 0xbf763a35, v202
	v_fma_f32 v193, v118, s10, -v185
	v_add_f32_e32 v9, v193, v9
	v_mul_f32_e32 v193, 0xbe3c28d5, v15
	v_mov_b32_e32 v15, v193
	v_mul_f32_e32 v100, 0x3eb8f4ab, v100
	v_fmac_f32_e32 v15, 0xbf7ba420, v70
	v_mov_b32_e32 v194, v100
	v_add_f32_e32 v15, v15, v16
	v_fmac_f32_e32 v194, 0x3f6eb680, v74
	v_add_f32_e32 v15, v194, v15
	v_mul_f32_e32 v194, 0xbe3c28d5, v14
	v_fma_f32 v14, v71, s15, -v194
	v_mul_f32_e32 v195, 0x3eb8f4ab, v67
	v_add_f32_e32 v14, v14, v17
	v_fma_f32 v67, v75, s5, -v195
	v_mul_f32_e32 v113, 0xbf06c442, v113
	v_add_f32_e32 v14, v67, v14
	v_mov_b32_e32 v67, v113
	v_fmac_f32_e32 v67, 0xbf59a7d5, v91
	v_mul_f32_e32 v196, 0xbf06c442, v111
	v_add_f32_e32 v15, v67, v15
	v_fma_f32 v67, v92, s14, -v196
	v_mul_f32_e32 v111, 0x3f2c7751, v126
	v_add_f32_e32 v14, v67, v14
	v_mov_b32_e32 v67, v111
	v_fmac_f32_e32 v67, 0x3f3d2fb0, v78
	;; [unrolled: 7-line block ×5, first 2 shown]
	v_mul_f32_e32 v152, 0xbf763a35, v200
	v_add_f32_e32 v15, v67, v15
	v_fma_f32 v67, v109, s10, -v152
	v_mul_f32_e32 v142, 0x3f7ee86f, v201
	v_add_f32_e32 v67, v67, v14
	v_mul_f32_e32 v199, 0x3f7ee86f, v202
	v_mov_b32_e32 v14, v142
	v_fmac_f32_e32 v14, 0x3dbcf732, v112
	v_fma_f32 v200, v118, s2, -v199
	v_add_f32_e32 v14, v14, v15
	v_add_f32_e32 v15, v200, v67
	v_mul_lo_u16_e32 v67, 17, v63
	s_barrier
	s_and_saveexec_b64 s[2:3], vcc
	s_cbranch_execz .LBB0_7
; %bb.6:
	v_mul_f32_e32 v201, 0x3f6eb680, v71
	v_mul_f32_e32 v203, 0x3f3d2fb0, v71
	;; [unrolled: 1-line block ×16, first 2 shown]
	v_add_f32_e32 v71, v194, v71
	v_mul_f32_e32 v229, 0x3ee437d1, v92
	v_mul_f32_e32 v231, 0xbf1a4643, v92
	;; [unrolled: 1-line block ×8, first 2 shown]
	v_add_f32_e32 v75, v195, v75
	v_add_f32_e32 v71, v71, v17
	v_mul_f32_e32 v243, 0x3dbcf732, v79
	v_mul_f32_e32 v245, 0xbf7ba420, v79
	;; [unrolled: 1-line block ×8, first 2 shown]
	v_add_f32_e32 v71, v75, v71
	v_add_f32_e32 v75, v196, v92
	v_add_f32_e32 v71, v75, v71
	v_add_f32_e32 v75, v197, v79
	v_add_f32_e32 v71, v75, v71
	v_mul_f32_e32 v75, 0xbf1a4643, v94
	v_mul_f32_e32 v200, 0x3f6eb680, v70
	;; [unrolled: 1-line block ×9, first 2 shown]
	v_add_f32_e32 v75, v198, v75
	v_mul_f32_e32 v214, 0x3f3d2fb0, v74
	v_mul_f32_e32 v216, 0x3dbcf732, v74
	;; [unrolled: 1-line block ×8, first 2 shown]
	v_add_f32_e32 v71, v75, v71
	v_mul_f32_e32 v75, 0x3ee437d1, v99
	v_sub_f32_e32 v70, v70, v193
	v_mul_f32_e32 v228, 0x3ee437d1, v91
	v_mul_f32_e32 v230, 0xbf1a4643, v91
	;; [unrolled: 1-line block ×8, first 2 shown]
	v_add_f32_e32 v75, v151, v75
	v_sub_f32_e32 v74, v74, v100
	v_add_f32_e32 v70, v70, v16
	v_mul_f32_e32 v242, 0x3dbcf732, v78
	v_mul_f32_e32 v244, 0xbf7ba420, v78
	;; [unrolled: 1-line block ×8, first 2 shown]
	v_add_f32_e32 v71, v75, v71
	v_mul_f32_e32 v75, 0xbe8c1d8e, v109
	v_add_f32_e32 v70, v74, v70
	v_sub_f32_e32 v74, v91, v113
	v_mul_f32_e32 v254, 0xbe8c1d8e, v86
	v_mul_f32_e32 v255, 0xbf59a7d5, v86
	;; [unrolled: 1-line block ×3, first 2 shown]
	v_add_f32_e32 v75, v152, v75
	v_mul_f32_e32 v152, 0x3ee437d1, v86
	v_mul_f32_e32 v193, 0xbf7ba420, v86
	;; [unrolled: 1-line block ×3, first 2 shown]
	v_add_f32_e32 v70, v74, v70
	v_mul_f32_e32 v74, 0x3f6eb680, v86
	v_mul_f32_e32 v86, 0xbf1a4643, v86
	v_sub_f32_e32 v78, v78, v111
	v_add_f32_e32 v70, v78, v70
	v_sub_f32_e32 v78, v86, v126
	v_add_f32_e32 v70, v78, v70
	v_mul_f32_e32 v78, 0x3ee437d1, v98
	v_sub_f32_e32 v78, v78, v127
	v_add_f32_e32 v70, v78, v70
	v_mul_f32_e32 v78, 0xbe8c1d8e, v103
	v_add_f32_e32 v71, v75, v71
	v_mul_f32_e32 v75, 0x3dbcf732, v118
	v_sub_f32_e32 v78, v78, v141
	v_add_f32_e32 v75, v199, v75
	v_add_f32_e32 v70, v78, v70
	v_mul_f32_e32 v78, 0x3dbcf732, v112
	v_sub_f32_e32 v78, v78, v142
	v_add_f32_e32 v71, v75, v71
	v_add_f32_e32 v75, v191, v213
	;; [unrolled: 1-line block ×7, first 2 shown]
	v_mul_f32_e32 v91, 0x3f6eb680, v94
	v_add_f32_e32 v75, v190, v75
	v_add_f32_e32 v189, v189, v195
	v_mul_f32_e32 v111, 0xbf1a4643, v99
	v_mul_f32_e32 v113, 0xbe8c1d8e, v99
	;; [unrolled: 1-line block ×7, first 2 shown]
	v_add_f32_e32 v75, v189, v75
	v_add_f32_e32 v91, v188, v91
	v_sub_f32_e32 v183, v212, v183
	v_add_f32_e32 v75, v91, v75
	v_add_f32_e32 v91, v187, v99
	v_sub_f32_e32 v184, v226, v184
	v_add_f32_e32 v183, v183, v16
	v_add_f32_e32 v75, v91, v75
	v_mul_f32_e32 v91, 0x3f3d2fb0, v109
	v_add_f32_e32 v183, v184, v183
	v_sub_f32_e32 v177, v240, v177
	v_add_f32_e32 v91, v186, v91
	v_add_f32_e32 v177, v177, v183
	v_sub_f32_e32 v178, v194, v178
	v_mul_f32_e32 v196, 0xbe8c1d8e, v94
	v_mul_f32_e32 v197, 0xbf59a7d5, v94
	;; [unrolled: 1-line block ×13, first 2 shown]
	v_add_f32_e32 v75, v91, v75
	v_mul_f32_e32 v91, 0xbe8c1d8e, v118
	v_add_f32_e32 v177, v178, v177
	v_sub_f32_e32 v74, v74, v179
	v_mul_f32_e32 v190, 0xbf59a7d5, v103
	v_mul_f32_e32 v189, 0x3ee437d1, v103
	v_mul_f32_e32 v227, 0x3dbcf732, v103
	v_mul_f32_e32 v186, 0xbf1a4643, v103
	v_add_f32_e32 v91, v185, v91
	v_mul_f32_e32 v185, 0x3f6eb680, v103
	v_mul_f32_e32 v184, 0xbf7ba420, v103
	;; [unrolled: 1-line block ×3, first 2 shown]
	v_add_f32_e32 v74, v74, v177
	v_sub_f32_e32 v98, v98, v180
	v_add_f32_e32 v74, v98, v74
	v_sub_f32_e32 v103, v103, v181
	v_add_f32_e32 v74, v103, v74
	v_mul_f32_e32 v103, 0xbe8c1d8e, v112
	v_sub_f32_e32 v103, v103, v182
	v_add_f32_e32 v75, v91, v75
	v_add_f32_e32 v91, v166, v211
	;; [unrolled: 1-line block ×11, first 2 shown]
	v_mul_f32_e32 v195, 0xbf59a7d5, v109
	v_mul_f32_e32 v188, 0x3ee437d1, v109
	;; [unrolled: 1-line block ×6, first 2 shown]
	v_add_f32_e32 v79, v79, v91
	v_add_f32_e32 v91, v174, v213
	v_mul_f32_e32 v183, 0xbf7ba420, v118
	v_mul_f32_e32 v178, 0x3f6eb680, v118
	;; [unrolled: 1-line block ×6, first 2 shown]
	v_add_f32_e32 v79, v91, v79
	v_add_f32_e32 v91, v175, v109
	;; [unrolled: 1-line block ×5, first 2 shown]
	v_sub_f32_e32 v91, v210, v161
	v_add_f32_e32 v91, v91, v16
	v_sub_f32_e32 v103, v224, v162
	v_add_f32_e32 v91, v103, v91
	;; [unrolled: 2-line block ×5, first 2 shown]
	v_sub_f32_e32 v78, v78, v168
	v_mul_f32_e32 v226, 0xbf7ba420, v112
	v_mul_f32_e32 v194, 0x3f6eb680, v112
	v_mul_f32_e32 v179, 0xbf59a7d5, v112
	v_mul_f32_e32 v180, 0x3f3d2fb0, v112
	v_mul_f32_e32 v181, 0xbf1a4643, v112
	v_mul_f32_e32 v112, 0x3ee437d1, v112
	v_add_f32_e32 v78, v78, v91
	v_sub_f32_e32 v91, v184, v170
	v_add_f32_e32 v78, v91, v78
	v_sub_f32_e32 v91, v112, v172
	v_add_f32_e32 v78, v91, v78
	v_add_f32_e32 v91, v153, v209
	v_add_f32_e32 v91, v91, v17
	v_add_f32_e32 v100, v154, v223
	v_add_f32_e32 v91, v100, v91
	v_add_f32_e32 v100, v155, v237
	v_add_f32_e32 v91, v100, v91
	v_add_f32_e32 v100, v156, v251
	v_add_f32_e32 v91, v100, v91
	v_add_f32_e32 v92, v157, v92
	v_add_f32_e32 v91, v92, v91
	v_add_f32_e32 v92, v158, v192
	v_add_f32_e32 v91, v92, v91
	v_add_f32_e32 v92, v159, v212
	v_add_f32_e32 v91, v92, v91
	v_add_f32_e32 v92, v160, v182
	v_add_f32_e32 v92, v92, v91
	v_sub_f32_e32 v91, v208, v143
	v_add_f32_e32 v91, v91, v16
	v_sub_f32_e32 v100, v222, v144
	v_add_f32_e32 v91, v100, v91
	v_sub_f32_e32 v100, v236, v145
	v_add_f32_e32 v91, v100, v91
	v_sub_f32_e32 v100, v250, v146
	v_add_f32_e32 v91, v100, v91
	v_sub_f32_e32 v100, v193, v147
	v_add_f32_e32 v91, v100, v91
	v_sub_f32_e32 v100, v191, v148
	v_add_f32_e32 v91, v100, v91
	v_sub_f32_e32 v100, v185, v149
	v_add_f32_e32 v91, v100, v91
	v_sub_f32_e32 v100, v181, v150
	v_add_f32_e32 v91, v100, v91
	v_add_f32_e32 v100, v130, v207
	v_add_f32_e32 v100, v100, v17
	;; [unrolled: 1-line block ×16, first 2 shown]
	v_sub_f32_e32 v98, v206, v123
	v_add_f32_e32 v98, v98, v16
	v_sub_f32_e32 v100, v220, v124
	v_add_f32_e32 v98, v100, v98
	;; [unrolled: 2-line block ×8, first 2 shown]
	v_add_f32_e32 v100, v114, v205
	v_add_f32_e32 v100, v100, v17
	;; [unrolled: 1-line block ×16, first 2 shown]
	v_sub_f32_e32 v100, v204, v101
	v_add_f32_e32 v83, v83, v203
	v_sub_f32_e32 v76, v202, v76
	v_add_f32_e32 v52, v52, v201
	;; [unrolled: 2-line block ×3, first 2 shown]
	v_add_f32_e32 v83, v83, v17
	v_add_f32_e32 v76, v76, v16
	;; [unrolled: 1-line block ×21, first 2 shown]
	v_sub_f32_e32 v53, v214, v53
	v_add_f32_e32 v17, v23, v17
	v_add_f32_e32 v16, v22, v16
	v_sub_f32_e32 v101, v218, v102
	v_add_f32_e32 v84, v84, v217
	v_sub_f32_e32 v77, v216, v77
	v_add_f32_e32 v52, v54, v52
	v_add_f32_e32 v54, v56, v229
	v_add_f32_e32 v51, v53, v51
	v_sub_f32_e32 v53, v228, v55
	v_add_f32_e32 v17, v25, v17
	v_add_f32_e32 v16, v24, v16
	;; [unrolled: 4-line block ×19, first 2 shown]
	v_add_f32_e32 v13, v13, v17
	v_add_f32_e32 v12, v12, v16
	v_add_lshl_u32 v16, v65, v67, 3
	v_add_f32_e32 v102, v101, v100
	v_add_f32_e32 v83, v84, v83
	;; [unrolled: 1-line block ×3, first 2 shown]
	ds_write2_b64 v16, v[12:13], v[51:52] offset1:1
	ds_write2_b64 v16, v[82:83], v[102:103] offset0:2 offset1:3
	ds_write2_b64 v16, v[98:99], v[91:92] offset0:4 offset1:5
	;; [unrolled: 1-line block ×7, first 2 shown]
	ds_write_b64 v16, v[49:50] offset:128
.LBB0_7:
	s_or_b64 exec, exec, s[2:3]
	v_lshlrev_b32_e32 v12, 6, v63
	s_load_dwordx4 s[0:3], s[0:1], 0x0
	s_waitcnt lgkmcnt(0)
	s_barrier
	global_load_dwordx4 v[28:31], v12, s[8:9]
	global_load_dwordx4 v[24:27], v12, s[8:9] offset:16
	global_load_dwordx4 v[20:23], v12, s[8:9] offset:32
	global_load_dwordx4 v[16:19], v12, s[8:9] offset:48
	v_add_lshl_u32 v68, v65, v63, 3
	ds_read2_b64 v[44:47], v68 offset1:17
	ds_read2_b64 v[32:35], v68 offset0:34 offset1:51
	ds_read2_b64 v[36:39], v68 offset0:68 offset1:85
	;; [unrolled: 1-line block ×3, first 2 shown]
	ds_read_b64 v[12:13], v68 offset:1088
	s_waitcnt lgkmcnt(4)
	v_mov_b32_e32 v51, v44
	v_mov_b32_e32 v52, v45
	s_mov_b32 s4, 0xbf248dbb
	s_waitcnt vmcnt(3)
	v_mul_f32_e32 v53, v47, v29
	v_mul_f32_e32 v54, v46, v29
	s_waitcnt lgkmcnt(3)
	v_mul_f32_e32 v56, v32, v31
	s_waitcnt vmcnt(2) lgkmcnt(2)
	v_mul_f32_e32 v59, v37, v27
	v_mul_f32_e32 v60, v36, v27
	s_waitcnt vmcnt(1)
	v_mul_f32_e32 v61, v39, v21
	v_mul_f32_e32 v62, v38, v21
	s_waitcnt vmcnt(0) lgkmcnt(1)
	v_mul_f32_e32 v72, v42, v17
	v_mul_f32_e32 v58, v34, v25
	;; [unrolled: 1-line block ×3, first 2 shown]
	s_waitcnt lgkmcnt(0)
	v_mul_f32_e32 v73, v13, v19
	v_mul_f32_e32 v74, v12, v19
	v_fma_f32 v46, v46, v28, -v53
	v_fmac_f32_e32 v54, v47, v28
	v_fmac_f32_e32 v56, v33, v30
	v_fma_f32 v47, v36, v26, -v59
	v_fmac_f32_e32 v60, v37, v26
	v_fma_f32 v53, v38, v20, -v61
	v_fmac_f32_e32 v62, v39, v20
	v_fmac_f32_e32 v72, v43, v16
	v_mul_f32_e32 v55, v33, v31
	v_mul_f32_e32 v57, v35, v25
	;; [unrolled: 1-line block ×4, first 2 shown]
	v_fmac_f32_e32 v58, v35, v24
	v_fmac_f32_e32 v70, v41, v22
	v_fma_f32 v12, v12, v18, -v73
	v_fmac_f32_e32 v74, v13, v18
	v_add_f32_e32 v61, v56, v72
	v_sub_f32_e32 v56, v56, v72
	v_sub_f32_e32 v72, v60, v62
	v_add_f32_e32 v73, v47, v53
	v_mov_b32_e32 v36, v44
	v_fma_f32 v32, v32, v30, -v55
	v_fma_f32 v33, v34, v24, -v57
	;; [unrolled: 1-line block ×4, first 2 shown]
	v_add_f32_e32 v55, v46, v12
	v_add_f32_e32 v57, v54, v74
	;; [unrolled: 1-line block ×3, first 2 shown]
	v_sub_f32_e32 v54, v54, v74
	v_sub_f32_e32 v58, v58, v70
	;; [unrolled: 1-line block ×3, first 2 shown]
	v_add_f32_e32 v74, v60, v62
	v_mul_f32_e32 v39, 0xbf248dbb, v72
	v_fmac_f32_e32 v36, 0x3f441b7d, v73
	v_mov_b32_e32 v37, v45
	v_add_f32_e32 v69, v33, v34
	v_sub_f32_e32 v46, v46, v12
	v_mul_f32_e32 v38, 0xbf248dbb, v70
	v_fmac_f32_e32 v39, 0x3f7c1c5c, v54
	v_fmac_f32_e32 v37, 0x3f441b7d, v74
	;; [unrolled: 1-line block ×3, first 2 shown]
	v_add_f32_e32 v59, v32, v35
	v_sub_f32_e32 v33, v33, v34
	v_fmac_f32_e32 v38, 0x3f7c1c5c, v46
	v_fmac_f32_e32 v39, 0xbf5db3d7, v58
	;; [unrolled: 1-line block ×3, first 2 shown]
	v_fmac_f32_e32 v36, -0.5, v69
	v_sub_f32_e32 v32, v32, v35
	v_fmac_f32_e32 v38, 0xbf5db3d7, v33
	v_fmac_f32_e32 v39, 0x3eaf1d44, v56
	v_fmac_f32_e32 v37, -0.5, v71
	v_fmac_f32_e32 v36, 0xbf708fb2, v59
	v_mul_f32_e32 v12, 0x3f248dbb, v54
	v_fmac_f32_e32 v51, 0x3f441b7d, v55
	v_fmac_f32_e32 v38, 0x3eaf1d44, v32
	;; [unrolled: 1-line block ×3, first 2 shown]
	v_add_f32_e32 v36, v39, v36
	v_mul_f32_e32 v13, 0x3f248dbb, v46
	v_fmac_f32_e32 v52, 0x3f441b7d, v57
	v_fmac_f32_e32 v12, 0x3f7c1c5c, v56
	;; [unrolled: 1-line block ×3, first 2 shown]
	v_sub_f32_e32 v37, v37, v38
	v_fma_f32 v42, -2.0, v39, v36
	v_add_f32_e32 v39, v72, v54
	v_add_f32_e32 v76, v61, v57
	v_fmac_f32_e32 v13, 0x3f7c1c5c, v32
	v_fmac_f32_e32 v52, 0x3e31d0d4, v61
	;; [unrolled: 1-line block ×3, first 2 shown]
	v_fmac_f32_e32 v51, -0.5, v69
	v_fma_f32 v43, 2.0, v38, v37
	v_add_f32_e32 v38, v70, v46
	v_sub_f32_e32 v41, v39, v56
	v_add_f32_e32 v39, v71, v45
	v_add_f32_e32 v75, v59, v55
	;; [unrolled: 1-line block ×3, first 2 shown]
	v_fmac_f32_e32 v13, 0x3f5db3d7, v33
	v_fmac_f32_e32 v52, -0.5, v71
	v_fmac_f32_e32 v12, 0x3eaf1d44, v72
	v_fmac_f32_e32 v51, 0xbf708fb2, v73
	v_sub_f32_e32 v40, v38, v32
	v_add_f32_e32 v38, v69, v44
	v_add_f32_e32 v77, v73, v75
	v_fmac_f32_e32 v39, -0.5, v78
	v_fmac_f32_e32 v13, 0x3eaf1d44, v70
	v_fmac_f32_e32 v52, 0xbf708fb2, v74
	v_add_f32_e32 v34, v12, v51
	v_mul_f32_e32 v51, 0x3f5db3d7, v40
	v_fmac_f32_e32 v38, -0.5, v77
	v_fmac_f32_e32 v39, 0xbf5db3d7, v40
	v_sub_f32_e32 v35, v52, v13
	v_mul_f32_e32 v52, 0x3f5db3d7, v41
	v_fmac_f32_e32 v38, 0x3f5db3d7, v41
	v_fma_f32 v41, 2.0, v51, v39
	v_mul_f32_e32 v51, 0x3f7c1c5c, v70
	v_fma_f32 v51, v32, s4, -v51
	v_fmac_f32_e32 v51, 0x3f5db3d7, v33
	v_add_f32_e32 v32, v69, v75
	v_add_f32_e32 v33, v71, v76
	;; [unrolled: 1-line block ×6, first 2 shown]
	v_fma_f32 v40, -2.0, v52, v38
	v_mul_f32_e32 v52, 0x3f7c1c5c, v72
	v_add_f32_e32 v32, v32, v44
	v_add_f32_e32 v33, v33, v45
	v_fmac_f32_e32 v44, 0x3f441b7d, v59
	v_fmac_f32_e32 v45, 0x3f441b7d, v61
	v_fma_f32 v52, v56, s4, -v52
	v_fmac_f32_e32 v44, 0x3e31d0d4, v73
	v_fmac_f32_e32 v45, 0x3e31d0d4, v74
	;; [unrolled: 1-line block ×3, first 2 shown]
	v_fmac_f32_e32 v44, -0.5, v69
	v_fmac_f32_e32 v45, -0.5, v71
	v_fmac_f32_e32 v51, 0x3eaf1d44, v46
	v_fmac_f32_e32 v52, 0x3eaf1d44, v54
	;; [unrolled: 1-line block ×4, first 2 shown]
	v_add_f32_e32 v44, v52, v44
	v_sub_f32_e32 v45, v45, v51
	v_fma_f32 v12, -2.0, v12, v34
	v_fma_f32 v13, 2.0, v13, v35
	v_fma_f32 v46, -2.0, v52, v44
	v_fma_f32 v47, 2.0, v51, v45
	v_lshl_add_u32 v69, v63, 3, v66
	ds_write2_b64 v69, v[32:33], v[34:35] offset1:17
	ds_write2_b64 v69, v[36:37], v[38:39] offset0:34 offset1:51
	ds_write2_b64 v69, v[44:45], v[46:47] offset0:68 offset1:85
	;; [unrolled: 1-line block ×3, first 2 shown]
	ds_write_b64 v69, v[12:13] offset:1088
	s_waitcnt lgkmcnt(0)
	s_barrier
	s_and_saveexec_b64 s[4:5], vcc
	s_cbranch_execz .LBB0_9
; %bb.8:
	global_load_dwordx2 v[86:87], v64, s[6:7] offset:1224
	s_add_u32 s8, s6, 0x4c8
	s_addc_u32 s9, s7, 0
	global_load_dwordx2 v[88:89], v64, s[8:9] offset:72
	global_load_dwordx2 v[90:91], v64, s[8:9] offset:144
	;; [unrolled: 1-line block ×15, first 2 shown]
	ds_read2_b64 v[51:54], v69 offset1:9
	ds_read2_b64 v[55:58], v69 offset0:18 offset1:27
	global_load_dwordx2 v[118:119], v64, s[8:9] offset:1152
	ds_read2_b64 v[59:62], v69 offset0:36 offset1:45
	ds_read2_b64 v[70:73], v69 offset0:54 offset1:63
	;; [unrolled: 1-line block ×5, first 2 shown]
	s_waitcnt vmcnt(13) lgkmcnt(5)
	v_mul_f32_e32 v122, v58, v93
	s_waitcnt vmcnt(12) lgkmcnt(4)
	v_mul_f32_e32 v123, v60, v95
	s_waitcnt vmcnt(11)
	v_mul_f32_e32 v124, v62, v97
	s_waitcnt vmcnt(10) lgkmcnt(3)
	v_mul_f32_e32 v125, v71, v99
	s_waitcnt vmcnt(9)
	;; [unrolled: 4-line block ×4, first 2 shown]
	v_mul_f32_e32 v130, v81, v109
	v_mul_f32_e32 v120, v52, v87
	;; [unrolled: 1-line block ×3, first 2 shown]
	v_fma_f32 v120, v51, v86, -v120
	v_fmac_f32_e32 v121, v52, v86
	v_mul_f32_e32 v51, v54, v89
	v_mul_f32_e32 v52, v53, v89
	;; [unrolled: 1-line block ×13, first 2 shown]
	v_fma_f32 v51, v53, v88, -v51
	v_fmac_f32_e32 v52, v54, v88
	v_fma_f32 v86, v55, v90, -v86
	v_fmac_f32_e32 v87, v56, v90
	;; [unrolled: 2-line block ×11, first 2 shown]
	ds_write2_b64 v69, v[120:121], v[51:52] offset1:9
	ds_write2_b64 v69, v[86:87], v[88:89] offset0:18 offset1:27
	ds_write2_b64 v69, v[90:91], v[92:93] offset0:36 offset1:45
	;; [unrolled: 1-line block ×5, first 2 shown]
	ds_read2_b64 v[51:54], v69 offset0:126 offset1:135
	s_waitcnt vmcnt(4) lgkmcnt(7)
	v_mul_f32_e32 v109, v83, v111
	v_mul_f32_e32 v107, v82, v111
	s_waitcnt vmcnt(3)
	v_mul_f32_e32 v111, v85, v113
	v_mul_f32_e32 v56, v84, v113
	v_fma_f32 v106, v82, v110, -v109
	v_fmac_f32_e32 v107, v83, v110
	v_fma_f32 v55, v84, v112, -v111
	v_fmac_f32_e32 v56, v85, v112
	ds_write2_b64 v69, v[106:107], v[55:56] offset0:108 offset1:117
	s_waitcnt vmcnt(2) lgkmcnt(1)
	v_mul_f32_e32 v55, v52, v115
	v_mul_f32_e32 v56, v51, v115
	v_fma_f32 v55, v51, v114, -v55
	v_fmac_f32_e32 v56, v52, v114
	ds_read_b64 v[51:52], v69 offset:1152
	s_waitcnt vmcnt(1)
	v_mul_f32_e32 v57, v54, v117
	v_mul_f32_e32 v58, v53, v117
	v_fma_f32 v57, v53, v116, -v57
	v_fmac_f32_e32 v58, v54, v116
	s_waitcnt vmcnt(0) lgkmcnt(0)
	v_mul_f32_e32 v53, v52, v119
	v_mul_f32_e32 v54, v51, v119
	v_fma_f32 v53, v51, v118, -v53
	v_fmac_f32_e32 v54, v52, v118
	ds_write2_b64 v69, v[55:56], v[57:58] offset0:126 offset1:135
	ds_write_b64 v69, v[53:54] offset:1152
.LBB0_9:
	s_or_b64 exec, exec, s[4:5]
	s_waitcnt lgkmcnt(0)
	s_barrier
	s_and_saveexec_b64 s[4:5], vcc
	s_cbranch_execz .LBB0_11
; %bb.10:
	ds_read2_b64 v[32:35], v69 offset1:9
	ds_read2_b64 v[36:39], v69 offset0:18 offset1:27
	ds_read2_b64 v[44:47], v69 offset0:36 offset1:45
	;; [unrolled: 1-line block ×7, first 2 shown]
	ds_read_b64 v[49:50], v69 offset:1152
.LBB0_11:
	s_or_b64 exec, exec, s[4:5]
	s_waitcnt lgkmcnt(0)
	s_barrier
	s_and_saveexec_b64 s[4:5], vcc
	s_cbranch_execz .LBB0_13
; %bb.12:
	v_add_f32_e32 v112, v50, v35
	v_mul_f32_e32 v86, 0xbf7ba420, v112
	v_add_f32_e32 v113, v3, v37
	v_sub_f32_e32 v70, v34, v49
	v_mov_b32_e32 v51, v86
	v_mul_f32_e32 v87, 0x3f6eb680, v113
	v_fmac_f32_e32 v51, 0x3e3c28d5, v70
	v_sub_f32_e32 v71, v36, v2
	v_mov_b32_e32 v52, v87
	v_add_f32_e32 v114, v1, v39
	v_add_f32_e32 v51, v33, v51
	v_fmac_f32_e32 v52, 0xbeb8f4ab, v71
	v_mul_f32_e32 v88, 0xbf59a7d5, v114
	v_add_f32_e32 v51, v52, v51
	v_sub_f32_e32 v72, v38, v0
	v_mov_b32_e32 v52, v88
	v_add_f32_e32 v115, v7, v45
	v_fmac_f32_e32 v52, 0x3f06c442, v72
	v_mul_f32_e32 v89, 0x3f3d2fb0, v115
	v_add_f32_e32 v51, v52, v51
	v_sub_f32_e32 v73, v44, v6
	v_mov_b32_e32 v52, v89
	;; [unrolled: 6-line block ×6, first 2 shown]
	v_sub_f32_e32 v120, v35, v50
	v_fmac_f32_e32 v52, 0xbf7ee86f, v77
	v_mul_f32_e32 v94, 0xbe3c28d5, v120
	v_sub_f32_e32 v121, v37, v3
	v_add_f32_e32 v52, v52, v51
	v_add_f32_e32 v78, v49, v34
	v_mov_b32_e32 v51, v94
	v_mul_f32_e32 v95, 0x3eb8f4ab, v121
	v_fmac_f32_e32 v51, 0xbf7ba420, v78
	v_add_f32_e32 v79, v2, v36
	v_mov_b32_e32 v53, v95
	v_sub_f32_e32 v122, v39, v1
	v_add_f32_e32 v51, v32, v51
	v_fmac_f32_e32 v53, 0x3f6eb680, v79
	v_mul_f32_e32 v96, 0xbf06c442, v122
	v_add_f32_e32 v51, v53, v51
	v_add_f32_e32 v80, v0, v38
	v_mov_b32_e32 v53, v96
	v_sub_f32_e32 v123, v45, v7
	v_fmac_f32_e32 v53, 0xbf59a7d5, v80
	v_mul_f32_e32 v97, 0x3f2c7751, v123
	v_add_f32_e32 v51, v53, v51
	v_add_f32_e32 v81, v6, v44
	v_mov_b32_e32 v53, v97
	v_sub_f32_e32 v124, v47, v5
	;; [unrolled: 6-line block ×5, first 2 shown]
	v_fmac_f32_e32 v53, 0xbe8c1d8e, v84
	v_mul_f32_e32 v101, 0x3f7ee86f, v127
	v_add_f32_e32 v51, v53, v51
	v_add_f32_e32 v85, v14, v12
	v_mov_b32_e32 v53, v101
	v_fmac_f32_e32 v53, 0x3dbcf732, v85
	v_mul_f32_e32 v102, 0xbf59a7d5, v112
	v_add_f32_e32 v51, v53, v51
	v_mov_b32_e32 v53, v102
	v_mul_f32_e32 v103, 0x3ee437d1, v113
	v_fmac_f32_e32 v53, 0x3f06c442, v70
	v_mov_b32_e32 v54, v103
	v_add_f32_e32 v53, v33, v53
	v_fmac_f32_e32 v54, 0xbf65296c, v71
	v_mul_f32_e32 v104, 0x3dbcf732, v114
	v_add_f32_e32 v53, v54, v53
	v_mov_b32_e32 v54, v104
	v_fmac_f32_e32 v54, 0x3f7ee86f, v72
	v_mul_f32_e32 v105, 0xbf1a4643, v115
	v_add_f32_e32 v53, v54, v53
	v_mov_b32_e32 v54, v105
	v_fmac_f32_e32 v54, 0xbf4c4adb, v73
	v_mul_f32_e32 v106, 0x3f6eb680, v116
	v_add_f32_e32 v53, v54, v53
	v_mov_b32_e32 v54, v106
	v_fmac_f32_e32 v54, 0x3eb8f4ab, v74
	v_mul_f32_e32 v107, 0xbf7ba420, v117
	v_add_f32_e32 v53, v54, v53
	v_mov_b32_e32 v54, v107
	v_fmac_f32_e32 v54, 0x3e3c28d5, v75
	v_mul_f32_e32 v108, 0x3f3d2fb0, v118
	v_add_f32_e32 v53, v54, v53
	v_mov_b32_e32 v54, v108
	v_fmac_f32_e32 v54, 0xbf2c7751, v76
	v_mul_f32_e32 v109, 0xbe8c1d8e, v119
	v_add_f32_e32 v53, v54, v53
	v_mov_b32_e32 v54, v109
	v_fmac_f32_e32 v54, 0x3f763a35, v77
	v_mul_f32_e32 v128, 0xbf06c442, v120
	v_add_f32_e32 v54, v54, v53
	v_mov_b32_e32 v53, v128
	v_mul_f32_e32 v129, 0x3f65296c, v121
	v_fmac_f32_e32 v53, 0xbf59a7d5, v78
	v_mov_b32_e32 v55, v129
	v_add_f32_e32 v53, v32, v53
	v_fmac_f32_e32 v55, 0x3ee437d1, v79
	v_mul_f32_e32 v130, 0xbf7ee86f, v122
	v_add_f32_e32 v53, v55, v53
	v_mov_b32_e32 v55, v130
	v_fmac_f32_e32 v55, 0x3dbcf732, v80
	v_mul_f32_e32 v131, 0x3f4c4adb, v123
	v_add_f32_e32 v53, v55, v53
	v_mov_b32_e32 v55, v131
	v_fmac_f32_e32 v55, 0xbf1a4643, v81
	v_mul_f32_e32 v132, 0xbeb8f4ab, v124
	v_add_f32_e32 v53, v55, v53
	v_mov_b32_e32 v55, v132
	v_fmac_f32_e32 v55, 0x3f6eb680, v82
	v_mul_f32_e32 v133, 0xbe3c28d5, v125
	v_add_f32_e32 v53, v55, v53
	v_mov_b32_e32 v55, v133
	v_fmac_f32_e32 v55, 0xbf7ba420, v83
	v_mul_f32_e32 v134, 0x3f2c7751, v126
	v_add_f32_e32 v53, v55, v53
	v_mov_b32_e32 v55, v134
	v_fmac_f32_e32 v55, 0x3f3d2fb0, v84
	v_mul_f32_e32 v135, 0xbf763a35, v127
	;; [unrolled: 32-line block ×5, first 2 shown]
	v_add_f32_e32 v57, v58, v57
	v_mov_b32_e32 v58, v159
	v_fmac_f32_e32 v58, 0x3f4c4adb, v77
	v_mul_f32_e32 v160, 0xbf763a35, v120
	v_add_f32_e32 v58, v58, v57
	v_mov_b32_e32 v57, v160
	v_mul_f32_e32 v161, 0x3f06c442, v121
	v_fmac_f32_e32 v57, 0xbe8c1d8e, v78
	v_mov_b32_e32 v59, v161
	v_add_f32_e32 v35, v35, v33
	v_add_f32_e32 v57, v32, v57
	v_fmac_f32_e32 v59, 0xbf59a7d5, v79
	v_mul_f32_e32 v162, 0x3f2c7751, v122
	v_add_f32_e32 v35, v37, v35
	v_add_f32_e32 v57, v59, v57
	v_mov_b32_e32 v59, v162
	v_add_f32_e32 v35, v39, v35
	v_fmac_f32_e32 v59, 0x3f3d2fb0, v80
	v_mul_f32_e32 v163, 0xbf65296c, v123
	v_add_f32_e32 v35, v45, v35
	v_add_f32_e32 v57, v59, v57
	v_mov_b32_e32 v59, v163
	;; [unrolled: 6-line block ×7, first 2 shown]
	v_mul_f32_e32 v169, 0xbf7ba420, v113
	v_add_f32_e32 v1, v3, v1
	v_add_f32_e32 v3, v34, v32
	v_fmac_f32_e32 v59, 0x3f7ee86f, v70
	v_mov_b32_e32 v60, v169
	v_add_f32_e32 v3, v36, v3
	v_add_f32_e32 v59, v33, v59
	v_fmac_f32_e32 v60, 0x3e3c28d5, v71
	v_mul_f32_e32 v170, 0xbe8c1d8e, v114
	v_add_f32_e32 v3, v38, v3
	v_add_f32_e32 v59, v60, v59
	v_mov_b32_e32 v60, v170
	v_add_f32_e32 v3, v44, v3
	v_fmac_f32_e32 v60, 0xbf763a35, v72
	v_mul_f32_e32 v171, 0x3f6eb680, v115
	v_add_f32_e32 v3, v46, v3
	v_add_f32_e32 v59, v60, v59
	v_mov_b32_e32 v60, v171
	;; [unrolled: 6-line block ×6, first 2 shown]
	v_add_f32_e32 v0, v0, v3
	v_fmac_f32_e32 v86, 0xbe3c28d5, v70
	v_fmac_f32_e32 v60, 0xbf2c7751, v77
	v_mul_f32_e32 v176, 0xbf7ee86f, v120
	v_add_f32_e32 v0, v2, v0
	v_add_f32_e32 v2, v33, v86
	v_fmac_f32_e32 v87, 0x3eb8f4ab, v71
	v_add_f32_e32 v60, v60, v59
	v_mov_b32_e32 v59, v176
	v_mul_f32_e32 v177, 0xbe3c28d5, v121
	v_add_f32_e32 v2, v87, v2
	v_fmac_f32_e32 v88, 0xbf06c442, v72
	v_fmac_f32_e32 v59, 0x3dbcf732, v78
	v_mov_b32_e32 v61, v177
	v_add_f32_e32 v2, v88, v2
	v_fmac_f32_e32 v89, 0x3f2c7751, v73
	v_add_f32_e32 v59, v32, v59
	v_fmac_f32_e32 v61, 0xbf7ba420, v79
	v_mul_f32_e32 v178, 0x3f763a35, v122
	v_add_f32_e32 v2, v89, v2
	v_fmac_f32_e32 v90, 0xbf4c4adb, v74
	v_add_f32_e32 v59, v61, v59
	v_mov_b32_e32 v61, v178
	v_add_f32_e32 v2, v90, v2
	v_fmac_f32_e32 v91, 0x3f65296c, v75
	v_fmac_f32_e32 v61, 0xbe8c1d8e, v80
	v_mul_f32_e32 v179, 0x3eb8f4ab, v123
	v_add_f32_e32 v2, v91, v2
	v_fmac_f32_e32 v92, 0xbf763a35, v76
	s_mov_b32 s8, 0xbf7ba420
	v_add_f32_e32 v59, v61, v59
	v_mov_b32_e32 v61, v179
	v_add_f32_e32 v2, v92, v2
	v_fmac_f32_e32 v93, 0x3f7ee86f, v77
	s_mov_b32 s10, 0x3f6eb680
	v_fmac_f32_e32 v61, 0x3f6eb680, v81
	v_mul_f32_e32 v180, 0xbf65296c, v124
	v_add_f32_e32 v3, v93, v2
	v_fma_f32 v2, v78, s8, -v94
	s_mov_b32 s9, 0xbf59a7d5
	v_add_f32_e32 v59, v61, v59
	v_mov_b32_e32 v61, v180
	v_add_f32_e32 v2, v32, v2
	v_fma_f32 v4, v79, s10, -v95
	s_mov_b32 s14, 0x3f3d2fb0
	v_fmac_f32_e32 v61, 0x3ee437d1, v82
	v_mul_f32_e32 v181, 0xbf06c442, v125
	v_add_f32_e32 v2, v4, v2
	v_fma_f32 v4, v80, s9, -v96
	v_add_f32_e32 v59, v61, v59
	v_mov_b32_e32 v61, v181
	v_add_f32_e32 v2, v4, v2
	v_fma_f32 v4, v81, s14, -v97
	s_mov_b32 s15, 0x3ee437d1
	v_fmac_f32_e32 v61, 0xbf59a7d5, v83
	v_mul_f32_e32 v182, 0x3f4c4adb, v126
	v_add_f32_e32 v2, v4, v2
	v_fma_f32 v4, v82, s11, -v98
	s_mov_b32 s16, 0xbe8c1d8e
	v_add_f32_e32 v59, v61, v59
	v_mov_b32_e32 v61, v182
	v_add_f32_e32 v2, v4, v2
	v_fma_f32 v4, v83, s15, -v99
	s_mov_b32 s17, 0x3dbcf732
	v_fmac_f32_e32 v61, 0xbf1a4643, v84
	v_mul_f32_e32 v183, 0x3f2c7751, v127
	v_add_f32_e32 v2, v4, v2
	v_fma_f32 v4, v84, s16, -v100
	v_add_f32_e32 v59, v61, v59
	v_mov_b32_e32 v61, v183
	v_add_f32_e32 v2, v4, v2
	v_fma_f32 v4, v85, s17, -v101
	v_fmac_f32_e32 v102, 0xbf06c442, v70
	v_fmac_f32_e32 v61, 0x3f3d2fb0, v85
	v_mul_f32_e32 v184, 0x3ee437d1, v112
	v_add_f32_e32 v2, v4, v2
	v_add_f32_e32 v4, v33, v102
	v_fmac_f32_e32 v103, 0x3f65296c, v71
	v_add_f32_e32 v59, v61, v59
	v_mov_b32_e32 v61, v184
	v_mul_f32_e32 v185, 0xbf1a4643, v113
	v_add_f32_e32 v4, v103, v4
	v_fmac_f32_e32 v104, 0xbf7ee86f, v72
	v_fmac_f32_e32 v61, 0x3f65296c, v70
	v_mov_b32_e32 v62, v185
	v_add_f32_e32 v4, v104, v4
	v_fmac_f32_e32 v105, 0x3f4c4adb, v73
	v_add_f32_e32 v61, v33, v61
	v_fmac_f32_e32 v62, 0x3f4c4adb, v71
	v_mul_f32_e32 v186, 0xbf7ba420, v114
	v_add_f32_e32 v4, v105, v4
	v_fmac_f32_e32 v106, 0xbeb8f4ab, v74
	v_add_f32_e32 v61, v62, v61
	v_mov_b32_e32 v62, v186
	v_add_f32_e32 v4, v106, v4
	v_fmac_f32_e32 v107, 0xbe3c28d5, v75
	v_fmac_f32_e32 v62, 0xbe3c28d5, v72
	v_mul_f32_e32 v187, 0xbe8c1d8e, v115
	v_add_f32_e32 v4, v107, v4
	v_fmac_f32_e32 v108, 0x3f2c7751, v76
	v_add_f32_e32 v61, v62, v61
	v_mov_b32_e32 v62, v187
	v_add_f32_e32 v4, v108, v4
	v_fmac_f32_e32 v109, 0xbf763a35, v77
	v_fmac_f32_e32 v62, 0xbf763a35, v73
	v_mul_f32_e32 v188, 0x3f3d2fb0, v116
	v_add_f32_e32 v5, v109, v4
	v_fma_f32 v4, v78, s9, -v128
	v_add_f32_e32 v61, v62, v61
	v_mov_b32_e32 v62, v188
	v_add_f32_e32 v4, v32, v4
	v_fma_f32 v6, v79, s15, -v129
	v_fmac_f32_e32 v62, 0xbf2c7751, v74
	v_mul_f32_e32 v189, 0x3f6eb680, v117
	v_add_f32_e32 v4, v6, v4
	v_fma_f32 v6, v80, s17, -v130
	v_add_f32_e32 v61, v62, v61
	v_mov_b32_e32 v62, v189
	v_add_f32_e32 v4, v6, v4
	v_fma_f32 v6, v81, s11, -v131
	v_fmac_f32_e32 v62, 0x3eb8f4ab, v75
	v_mul_f32_e32 v190, 0x3dbcf732, v118
	v_add_f32_e32 v4, v6, v4
	v_fma_f32 v6, v82, s10, -v132
	v_add_f32_e32 v61, v62, v61
	v_mov_b32_e32 v62, v190
	v_add_f32_e32 v4, v6, v4
	v_fma_f32 v6, v83, s8, -v133
	v_fmac_f32_e32 v62, 0x3f7ee86f, v76
	v_mul_f32_e32 v191, 0xbf59a7d5, v119
	v_add_f32_e32 v4, v6, v4
	v_fma_f32 v6, v84, s14, -v134
	v_add_f32_e32 v61, v62, v61
	v_mov_b32_e32 v62, v191
	v_add_f32_e32 v4, v6, v4
	v_fma_f32 v6, v85, s16, -v135
	v_fmac_f32_e32 v136, 0xbf4c4adb, v70
	v_fmac_f32_e32 v62, 0x3f06c442, v77
	v_mul_f32_e32 v192, 0xbf65296c, v120
	v_add_f32_e32 v4, v6, v4
	v_add_f32_e32 v6, v33, v136
	v_fmac_f32_e32 v137, 0x3f763a35, v71
	v_add_f32_e32 v62, v62, v61
	v_mov_b32_e32 v61, v192
	v_mul_f32_e32 v193, 0xbf4c4adb, v121
	v_add_f32_e32 v6, v137, v6
	v_fmac_f32_e32 v138, 0xbeb8f4ab, v72
	v_fmac_f32_e32 v61, 0x3ee437d1, v78
	v_mov_b32_e32 v110, v193
	v_add_f32_e32 v6, v138, v6
	v_fmac_f32_e32 v139, 0xbf06c442, v73
	v_add_f32_e32 v61, v32, v61
	v_fmac_f32_e32 v110, 0xbf1a4643, v79
	v_mul_f32_e32 v194, 0x3e3c28d5, v122
	v_add_f32_e32 v6, v139, v6
	v_fmac_f32_e32 v140, 0x3f7ee86f, v74
	v_add_f32_e32 v61, v110, v61
	v_mov_b32_e32 v110, v194
	v_add_f32_e32 v6, v140, v6
	v_fmac_f32_e32 v141, 0xbf2c7751, v75
	v_fmac_f32_e32 v110, 0xbf7ba420, v80
	v_mul_f32_e32 v195, 0x3f763a35, v123
	v_add_f32_e32 v6, v141, v6
	v_fmac_f32_e32 v142, 0xbe3c28d5, v76
	v_add_f32_e32 v61, v110, v61
	v_mov_b32_e32 v110, v195
	v_add_f32_e32 v6, v142, v6
	v_fmac_f32_e32 v143, 0x3f65296c, v77
	v_fmac_f32_e32 v110, 0xbe8c1d8e, v81
	v_mul_f32_e32 v196, 0x3f2c7751, v124
	v_add_f32_e32 v7, v143, v6
	v_fma_f32 v6, v78, s11, -v144
	v_add_f32_e32 v61, v110, v61
	v_mov_b32_e32 v110, v196
	v_add_f32_e32 v6, v32, v6
	v_fma_f32 v8, v79, s16, -v145
	v_fmac_f32_e32 v110, 0x3f3d2fb0, v82
	v_mul_f32_e32 v197, 0xbeb8f4ab, v125
	v_add_f32_e32 v6, v8, v6
	v_fma_f32 v8, v80, s10, -v146
	v_add_f32_e32 v61, v110, v61
	v_mov_b32_e32 v110, v197
	v_add_f32_e32 v6, v8, v6
	v_fma_f32 v8, v81, s9, -v147
	v_fmac_f32_e32 v110, 0x3f6eb680, v83
	v_mul_f32_e32 v198, 0xbf7ee86f, v126
	v_add_f32_e32 v6, v8, v6
	v_fma_f32 v8, v82, s17, -v148
	v_add_f32_e32 v61, v110, v61
	v_mov_b32_e32 v110, v198
	v_add_f32_e32 v6, v8, v6
	v_fma_f32 v8, v83, s14, -v149
	;; [unrolled: 64-line block ×3, first 2 shown]
	v_fmac_f32_e32 v111, 0xbf65296c, v76
	v_mul_f32_e32 v207, 0x3f6eb680, v119
	v_add_f32_e32 v8, v10, v8
	v_fma_f32 v10, v84, s10, -v166
	v_add_f32_e32 v110, v111, v110
	v_mov_b32_e32 v111, v207
	v_add_f32_e32 v8, v10, v8
	v_fma_f32 v10, v85, s11, -v167
	v_fmac_f32_e32 v168, 0xbf7ee86f, v70
	v_fmac_f32_e32 v111, 0xbeb8f4ab, v77
	v_mul_f32_e32 v208, 0xbf2c7751, v120
	v_add_f32_e32 v8, v10, v8
	v_add_f32_e32 v10, v33, v168
	v_fmac_f32_e32 v169, 0xbe3c28d5, v71
	v_add_f32_e32 v111, v111, v110
	v_mov_b32_e32 v110, v208
	v_mul_f32_e32 v209, 0xbf7ee86f, v121
	v_add_f32_e32 v10, v169, v10
	v_fmac_f32_e32 v170, 0x3f763a35, v72
	v_fmac_f32_e32 v110, 0x3f3d2fb0, v78
	v_mov_b32_e32 v210, v209
	v_add_f32_e32 v10, v170, v10
	v_fmac_f32_e32 v171, 0x3eb8f4ab, v73
	v_add_f32_e32 v110, v32, v110
	v_fmac_f32_e32 v210, 0x3dbcf732, v79
	;; [unrolled: 2-line block ×3, first 2 shown]
	v_add_f32_e32 v110, v210, v110
	v_mul_f32_e32 v210, 0xbf4c4adb, v122
	v_add_f32_e32 v10, v172, v10
	v_fmac_f32_e32 v173, 0xbf06c442, v75
	v_mov_b32_e32 v211, v210
	v_add_f32_e32 v10, v173, v10
	v_fmac_f32_e32 v174, 0x3f4c4adb, v76
	v_fmac_f32_e32 v211, 0xbf1a4643, v80
	v_add_f32_e32 v10, v174, v10
	v_fmac_f32_e32 v175, 0x3f2c7751, v77
	v_add_f32_e32 v110, v211, v110
	v_mul_f32_e32 v211, 0xbe3c28d5, v123
	v_add_f32_e32 v11, v175, v10
	v_fma_f32 v10, v78, s17, -v176
	v_mov_b32_e32 v212, v211
	v_add_f32_e32 v10, v32, v10
	v_fma_f32 v12, v79, s8, -v177
	v_fmac_f32_e32 v212, 0xbf7ba420, v81
	v_add_f32_e32 v10, v12, v10
	v_fma_f32 v12, v80, s16, -v178
	v_add_f32_e32 v110, v212, v110
	v_mul_f32_e32 v212, 0x3f06c442, v124
	v_add_f32_e32 v10, v12, v10
	v_fma_f32 v12, v81, s10, -v179
	v_mov_b32_e32 v213, v212
	v_add_f32_e32 v10, v12, v10
	v_fma_f32 v12, v82, s15, -v180
	v_fmac_f32_e32 v213, 0xbf59a7d5, v82
	v_add_f32_e32 v10, v12, v10
	v_fma_f32 v12, v83, s9, -v181
	v_add_f32_e32 v110, v213, v110
	v_mul_f32_e32 v213, 0x3f763a35, v125
	v_add_f32_e32 v10, v12, v10
	v_fma_f32 v12, v84, s11, -v182
	v_mov_b32_e32 v214, v213
	v_add_f32_e32 v10, v12, v10
	v_fma_f32 v12, v85, s14, -v183
	v_fmac_f32_e32 v184, 0xbf65296c, v70
	v_fmac_f32_e32 v214, 0xbe8c1d8e, v83
	v_add_f32_e32 v10, v12, v10
	v_add_f32_e32 v12, v33, v184
	v_fmac_f32_e32 v185, 0xbf4c4adb, v71
	v_add_f32_e32 v110, v214, v110
	v_mul_f32_e32 v214, 0x3f65296c, v126
	v_add_f32_e32 v12, v185, v12
	v_fmac_f32_e32 v186, 0x3e3c28d5, v72
	v_mov_b32_e32 v215, v214
	v_add_f32_e32 v12, v186, v12
	v_fmac_f32_e32 v187, 0x3f763a35, v73
	v_fmac_f32_e32 v215, 0x3ee437d1, v84
	v_add_f32_e32 v12, v187, v12
	v_fmac_f32_e32 v188, 0x3f2c7751, v74
	v_add_f32_e32 v110, v215, v110
	v_mul_f32_e32 v215, 0x3eb8f4ab, v127
	v_add_f32_e32 v12, v188, v12
	v_fmac_f32_e32 v189, 0xbeb8f4ab, v75
	v_mov_b32_e32 v216, v215
	v_add_f32_e32 v12, v189, v12
	v_fmac_f32_e32 v190, 0xbf7ee86f, v76
	v_fmac_f32_e32 v216, 0x3f6eb680, v85
	v_add_f32_e32 v12, v190, v12
	v_fmac_f32_e32 v191, 0xbf06c442, v77
	v_add_f32_e32 v110, v216, v110
	v_mul_f32_e32 v216, 0x3f6eb680, v112
	v_add_f32_e32 v13, v191, v12
	v_fma_f32 v12, v78, s15, -v192
	v_mov_b32_e32 v112, v216
	v_mul_f32_e32 v217, 0x3f3d2fb0, v113
	v_add_f32_e32 v12, v32, v12
	v_fma_f32 v14, v79, s11, -v193
	v_fmac_f32_e32 v112, 0x3eb8f4ab, v70
	v_mov_b32_e32 v113, v217
	v_add_f32_e32 v12, v14, v12
	v_fma_f32 v14, v80, s8, -v194
	v_add_f32_e32 v112, v33, v112
	v_fmac_f32_e32 v113, 0x3f2c7751, v71
	v_mul_f32_e32 v114, 0x3ee437d1, v114
	v_add_f32_e32 v12, v14, v12
	v_fma_f32 v14, v81, s16, -v195
	v_add_f32_e32 v112, v113, v112
	v_mov_b32_e32 v113, v114
	v_add_f32_e32 v12, v14, v12
	v_fma_f32 v14, v82, s14, -v196
	v_fmac_f32_e32 v113, 0x3f65296c, v72
	v_mul_f32_e32 v115, 0x3dbcf732, v115
	v_add_f32_e32 v12, v14, v12
	v_fma_f32 v14, v83, s10, -v197
	v_add_f32_e32 v112, v113, v112
	v_mov_b32_e32 v113, v115
	v_add_f32_e32 v12, v14, v12
	v_fma_f32 v14, v84, s17, -v198
	v_fmac_f32_e32 v113, 0x3f7ee86f, v73
	v_mul_f32_e32 v116, 0xbe8c1d8e, v116
	v_add_f32_e32 v12, v14, v12
	v_fma_f32 v14, v85, s9, -v199
	v_fmac_f32_e32 v200, 0xbf2c7751, v70
	v_add_f32_e32 v112, v113, v112
	v_mov_b32_e32 v113, v116
	v_add_f32_e32 v12, v14, v12
	v_add_f32_e32 v14, v33, v200
	v_fmac_f32_e32 v201, 0xbf7ee86f, v71
	v_fmac_f32_e32 v113, 0x3f763a35, v74
	v_mul_f32_e32 v117, 0xbf1a4643, v117
	v_add_f32_e32 v14, v201, v14
	v_fmac_f32_e32 v202, 0xbf4c4adb, v72
	v_add_f32_e32 v112, v113, v112
	v_mov_b32_e32 v113, v117
	v_add_f32_e32 v14, v202, v14
	v_fmac_f32_e32 v203, 0xbe3c28d5, v73
	v_fmac_f32_e32 v113, 0x3f4c4adb, v75
	v_mul_f32_e32 v118, 0xbf59a7d5, v118
	v_add_f32_e32 v14, v203, v14
	v_fmac_f32_e32 v204, 0x3f06c442, v74
	v_add_f32_e32 v112, v113, v112
	v_mov_b32_e32 v113, v118
	;; [unrolled: 8-line block ×3, first 2 shown]
	v_add_f32_e32 v14, v206, v14
	v_fmac_f32_e32 v207, 0x3eb8f4ab, v77
	v_fmac_f32_e32 v113, 0x3e3c28d5, v77
	v_mul_f32_e32 v120, 0xbeb8f4ab, v120
	v_add_f32_e32 v15, v207, v14
	v_fma_f32 v14, v78, s14, -v208
	v_add_f32_e32 v113, v113, v112
	v_mov_b32_e32 v112, v120
	v_mul_f32_e32 v121, 0xbf2c7751, v121
	v_add_f32_e32 v14, v32, v14
	v_fma_f32 v34, v79, s17, -v209
	v_fmac_f32_e32 v112, 0x3f6eb680, v78
	v_mov_b32_e32 v218, v121
	v_add_f32_e32 v14, v34, v14
	v_fma_f32 v34, v80, s11, -v210
	v_add_f32_e32 v112, v32, v112
	v_fmac_f32_e32 v218, 0x3f3d2fb0, v79
	v_mul_f32_e32 v122, 0xbf65296c, v122
	v_add_f32_e32 v14, v34, v14
	v_fma_f32 v34, v81, s8, -v211
	v_add_f32_e32 v112, v218, v112
	v_mov_b32_e32 v218, v122
	v_add_f32_e32 v14, v34, v14
	v_fma_f32 v34, v82, s9, -v212
	v_fmac_f32_e32 v218, 0x3ee437d1, v80
	v_mul_f32_e32 v123, 0xbf7ee86f, v123
	v_add_f32_e32 v14, v34, v14
	v_fma_f32 v34, v83, s16, -v213
	v_add_f32_e32 v112, v218, v112
	v_mov_b32_e32 v218, v123
	v_add_f32_e32 v14, v34, v14
	v_fma_f32 v34, v84, s15, -v214
	;; [unrolled: 8-line block ×3, first 2 shown]
	v_fmac_f32_e32 v218, 0xbe8c1d8e, v82
	v_mul_f32_e32 v125, 0xbf4c4adb, v125
	v_fmac_f32_e32 v216, 0xbeb8f4ab, v70
	v_add_f32_e32 v32, v32, v34
	v_fma_f32 v34, v79, s14, -v121
	v_add_f32_e32 v112, v218, v112
	v_mov_b32_e32 v218, v125
	v_add_f32_e32 v33, v33, v216
	v_fmac_f32_e32 v217, 0xbf2c7751, v71
	v_add_f32_e32 v32, v34, v32
	v_fma_f32 v34, v80, s15, -v122
	v_fmac_f32_e32 v218, 0xbf1a4643, v83
	v_mul_f32_e32 v126, 0xbf06c442, v126
	v_add_f32_e32 v33, v217, v33
	v_fmac_f32_e32 v114, 0xbf65296c, v72
	v_add_f32_e32 v32, v34, v32
	v_fma_f32 v34, v81, s17, -v123
	v_add_f32_e32 v112, v218, v112
	v_mov_b32_e32 v218, v126
	v_add_f32_e32 v33, v114, v33
	v_fmac_f32_e32 v115, 0xbf7ee86f, v73
	v_add_f32_e32 v32, v34, v32
	v_fma_f32 v34, v82, s16, -v124
	v_fmac_f32_e32 v218, 0xbf59a7d5, v84
	v_mul_f32_e32 v127, 0xbe3c28d5, v127
	v_add_f32_e32 v33, v115, v33
	v_fmac_f32_e32 v116, 0xbf763a35, v74
	v_add_f32_e32 v32, v34, v32
	v_fma_f32 v34, v83, s11, -v125
	v_add_f32_e32 v112, v218, v112
	v_mov_b32_e32 v218, v127
	v_add_f32_e32 v33, v116, v33
	v_fmac_f32_e32 v117, 0xbf4c4adb, v75
	v_add_f32_e32 v32, v34, v32
	v_fma_f32 v34, v84, s9, -v126
	v_fmac_f32_e32 v218, 0xbf7ba420, v85
	v_add_f32_e32 v33, v117, v33
	v_fmac_f32_e32 v118, 0xbf06c442, v76
	v_add_f32_e32 v32, v34, v32
	v_fma_f32 v34, v85, s8, -v127
	v_add_f32_e32 v112, v218, v112
	v_add_f32_e32 v1, v50, v1
	;; [unrolled: 1-line block ×4, first 2 shown]
	v_fmac_f32_e32 v119, 0xbe3c28d5, v77
	v_add_f32_e32 v32, v34, v32
	v_lshl_add_u32 v34, v67, 3, v66
	v_add_f32_e32 v33, v119, v33
	ds_write2_b64 v34, v[0:1], v[112:113] offset1:1
	ds_write2_b64 v34, v[110:111], v[61:62] offset0:2 offset1:3
	ds_write2_b64 v34, v[59:60], v[57:58] offset0:4 offset1:5
	;; [unrolled: 1-line block ×7, first 2 shown]
	ds_write_b64 v34, v[32:33] offset:128
.LBB0_13:
	s_or_b64 exec, exec, s[4:5]
	s_waitcnt lgkmcnt(0)
	s_barrier
	ds_read2_b64 v[0:3], v68 offset1:17
	ds_read2_b64 v[4:7], v68 offset0:34 offset1:51
	ds_read2_b64 v[8:11], v68 offset0:68 offset1:85
	;; [unrolled: 1-line block ×3, first 2 shown]
	ds_read_b64 v[32:33], v68 offset:1088
	s_waitcnt lgkmcnt(4)
	v_mul_f32_e32 v34, v29, v3
	v_fmac_f32_e32 v34, v28, v2
	v_mul_f32_e32 v2, v29, v2
	v_fma_f32 v2, v28, v3, -v2
	s_waitcnt lgkmcnt(3)
	v_mul_f32_e32 v3, v31, v5
	v_fmac_f32_e32 v3, v30, v4
	v_mul_f32_e32 v4, v31, v4
	v_fma_f32 v4, v30, v5, -v4
	v_mul_f32_e32 v5, v25, v7
	v_fmac_f32_e32 v5, v24, v6
	v_mul_f32_e32 v6, v25, v6
	v_fma_f32 v6, v24, v7, -v6
	s_waitcnt lgkmcnt(2)
	v_mul_f32_e32 v24, v27, v9
	v_mul_f32_e32 v7, v27, v8
	v_fmac_f32_e32 v24, v26, v8
	v_fma_f32 v25, v26, v9, -v7
	v_mul_f32_e32 v26, v21, v11
	v_mul_f32_e32 v7, v21, v10
	v_fmac_f32_e32 v26, v20, v10
	v_fma_f32 v20, v20, v11, -v7
	s_waitcnt lgkmcnt(1)
	v_mul_f32_e32 v7, v23, v13
	v_fmac_f32_e32 v7, v22, v12
	v_mul_f32_e32 v8, v23, v12
	s_waitcnt lgkmcnt(0)
	v_mul_f32_e32 v11, v19, v33
	v_mul_f32_e32 v12, v19, v32
	;; [unrolled: 1-line block ×4, first 2 shown]
	v_fmac_f32_e32 v11, v18, v32
	v_fma_f32 v12, v18, v33, -v12
	v_fmac_f32_e32 v9, v16, v14
	v_fma_f32 v10, v16, v15, -v10
	v_sub_f32_e32 v14, v34, v11
	v_sub_f32_e32 v15, v2, v12
	v_fma_f32 v8, v22, v13, -v8
	v_add_f32_e32 v19, v4, v10
	v_add_f32_e32 v21, v5, v7
	v_sub_f32_e32 v23, v3, v9
	v_sub_f32_e32 v27, v4, v10
	v_sub_f32_e32 v28, v5, v7
	v_mul_f32_e32 v5, 0x3f248dbb, v14
	v_mul_f32_e32 v4, 0x3f248dbb, v15
	v_sub_f32_e32 v30, v24, v26
	v_sub_f32_e32 v31, v25, v20
	v_add_f32_e32 v18, v3, v9
	v_add_f32_e32 v22, v6, v8
	v_sub_f32_e32 v29, v6, v8
	v_fmac_f32_e32 v5, 0x3f7c1c5c, v23
	v_fmac_f32_e32 v4, 0x3f7c1c5c, v27
	v_mul_f32_e32 v9, 0xbf248dbb, v30
	v_mul_f32_e32 v8, 0xbf248dbb, v31
	v_fmac_f32_e32 v5, 0x3f5db3d7, v28
	v_fmac_f32_e32 v4, 0x3f5db3d7, v29
	;; [unrolled: 1-line block ×4, first 2 shown]
	v_add_f32_e32 v16, v34, v11
	v_fmac_f32_e32 v5, 0x3eaf1d44, v30
	v_fmac_f32_e32 v4, 0x3eaf1d44, v31
	s_mov_b32 s4, 0xbf248dbb
	v_fmac_f32_e32 v9, 0xbf5db3d7, v28
	v_fmac_f32_e32 v8, 0xbf5db3d7, v29
	v_add_f32_e32 v10, v30, v14
	v_add_f32_e32 v11, v31, v15
	v_mul_f32_e32 v30, 0x3f7c1c5c, v30
	v_mul_f32_e32 v31, 0x3f7c1c5c, v31
	v_add_f32_e32 v17, v2, v12
	v_fmac_f32_e32 v9, 0x3eaf1d44, v23
	v_fmac_f32_e32 v8, 0x3eaf1d44, v27
	v_sub_f32_e32 v12, v10, v23
	v_sub_f32_e32 v13, v11, v27
	v_fma_f32 v23, v23, s4, -v30
	v_fma_f32 v27, v27, s4, -v31
	v_add_f32_e32 v36, v18, v16
	v_add_f32_e32 v37, v19, v17
	v_fmac_f32_e32 v23, 0x3f5db3d7, v28
	v_fmac_f32_e32 v27, 0x3f5db3d7, v29
	;; [unrolled: 1-line block ×4, first 2 shown]
	v_add_f32_e32 v14, v21, v36
	v_add_f32_e32 v15, v22, v37
	;; [unrolled: 1-line block ×4, first 2 shown]
	v_mov_b32_e32 v2, v0
	v_mov_b32_e32 v3, v1
	v_add_f32_e32 v14, v26, v14
	v_add_f32_e32 v15, v20, v15
	v_fmac_f32_e32 v2, 0x3f441b7d, v16
	v_fmac_f32_e32 v3, 0x3f441b7d, v17
	v_add_f32_e32 v32, v24, v26
	v_add_f32_e32 v33, v25, v20
	v_mov_b32_e32 v6, v0
	v_mov_b32_e32 v7, v1
	v_add_f32_e32 v10, v21, v0
	v_add_f32_e32 v11, v22, v1
	v_add_f32_e32 v14, v14, v0
	v_add_f32_e32 v15, v15, v1
	v_fmac_f32_e32 v0, 0x3f441b7d, v18
	v_fmac_f32_e32 v1, 0x3f441b7d, v19
	;; [unrolled: 1-line block ×8, first 2 shown]
	v_fmac_f32_e32 v2, -0.5, v21
	v_fmac_f32_e32 v3, -0.5, v22
	v_fmac_f32_e32 v6, 0x3e31d0d4, v16
	v_fmac_f32_e32 v7, 0x3e31d0d4, v17
	v_fmac_f32_e32 v0, -0.5, v21
	v_fmac_f32_e32 v1, -0.5, v22
	v_fmac_f32_e32 v2, 0xbf708fb2, v32
	v_fmac_f32_e32 v3, 0xbf708fb2, v33
	v_fmac_f32_e32 v6, -0.5, v21
	v_fmac_f32_e32 v7, -0.5, v22
	v_add_f32_e32 v38, v32, v36
	v_add_f32_e32 v39, v33, v37
	v_fmac_f32_e32 v0, 0xbf708fb2, v16
	v_fmac_f32_e32 v1, 0xbf708fb2, v17
	v_sub_f32_e32 v2, v2, v4
	v_add_f32_e32 v3, v5, v3
	v_fmac_f32_e32 v6, 0xbf708fb2, v18
	v_fmac_f32_e32 v7, 0xbf708fb2, v19
	v_fmac_f32_e32 v10, -0.5, v38
	v_fmac_f32_e32 v11, -0.5, v39
	v_sub_f32_e32 v0, v0, v27
	v_add_f32_e32 v1, v23, v1
	v_fma_f32 v4, 2.0, v4, v2
	v_fma_f32 v5, -2.0, v5, v3
	v_sub_f32_e32 v6, v6, v8
	v_add_f32_e32 v7, v9, v7
	v_fmac_f32_e32 v10, 0xbf5db3d7, v13
	v_fmac_f32_e32 v11, 0x3f5db3d7, v12
	ds_write2_b64 v69, v[14:15], v[2:3] offset1:17
	ds_write2_b64 v69, v[6:7], v[10:11] offset0:34 offset1:51
	v_mov_b32_e32 v3, v1
	v_mov_b32_e32 v2, v0
	v_mul_f32_e32 v34, 0x3f5db3d7, v12
	v_mul_f32_e32 v35, 0x3f5db3d7, v13
	v_fmac_f32_e32 v3, -2.0, v23
	v_fmac_f32_e32 v2, 2.0, v27
	v_fma_f32 v8, 2.0, v8, v6
	v_fma_f32 v9, -2.0, v9, v7
	v_fma_f32 v12, 2.0, v35, v10
	v_fma_f32 v13, -2.0, v34, v11
	ds_write2_b64 v69, v[0:1], v[2:3] offset0:68 offset1:85
	ds_write2_b64 v69, v[12:13], v[8:9] offset0:102 offset1:119
	ds_write_b64 v69, v[4:5] offset:1088
	s_waitcnt lgkmcnt(0)
	s_barrier
	s_and_b64 exec, exec, vcc
	s_cbranch_execz .LBB0_15
; %bb.14:
	global_load_dwordx2 v[0:1], v64, s[6:7]
	ds_read_b64 v[4:5], v69
	v_mad_u64_u32 v[2:3], s[4:5], s2, v48, 0
	v_mad_u64_u32 v[6:7], s[4:5], s0, v63, 0
	s_waitcnt lgkmcnt(0)
	v_mad_u64_u32 v[8:9], s[2:3], s3, v48, v[3:4]
	s_mov_b32 s4, 0x1ac5701b
	s_mov_b32 s5, 0x3f7ac570
	v_mad_u64_u32 v[9:10], s[2:3], s1, v63, v[7:8]
	v_mov_b32_e32 v11, s13
	v_lshl_add_u32 v10, v65, 3, v64
	v_mov_b32_e32 v7, v9
	v_lshlrev_b64 v[6:7], 3, v[6:7]
	s_mul_i32 s3, s1, 0x48
	s_mul_hi_u32 s8, s0, 0x48
	s_mul_i32 s2, s0, 0x48
	s_add_i32 s3, s8, s3
	s_waitcnt vmcnt(0)
	v_mul_f32_e32 v3, v5, v1
	v_mul_f32_e32 v1, v4, v1
	v_fmac_f32_e32 v3, v4, v0
	v_fma_f32 v4, v0, v5, -v1
	v_cvt_f64_f32_e32 v[0:1], v3
	v_cvt_f64_f32_e32 v[4:5], v4
	v_mov_b32_e32 v3, v8
	v_lshlrev_b64 v[2:3], 3, v[2:3]
	v_mul_f64 v[0:1], v[0:1], s[4:5]
	v_mul_f64 v[4:5], v[4:5], s[4:5]
	v_add_co_u32_e32 v8, vcc, s12, v2
	v_addc_co_u32_e32 v9, vcc, v11, v3, vcc
	v_cvt_f32_f64_e32 v0, v[0:1]
	v_cvt_f32_f64_e32 v1, v[4:5]
	v_add_co_u32_e32 v4, vcc, v8, v6
	v_addc_co_u32_e32 v5, vcc, v9, v7, vcc
	global_store_dwordx2 v[4:5], v[0:1], off
	global_load_dwordx2 v[6:7], v64, s[6:7] offset:72
	ds_read2_b64 v[0:3], v10 offset0:9 offset1:18
	v_add_co_u32_e32 v4, vcc, s2, v4
	s_waitcnt vmcnt(0) lgkmcnt(0)
	v_mul_f32_e32 v11, v1, v7
	v_mul_f32_e32 v7, v0, v7
	v_fmac_f32_e32 v11, v0, v6
	v_fma_f32 v6, v6, v1, -v7
	v_cvt_f64_f32_e32 v[0:1], v11
	v_cvt_f64_f32_e32 v[6:7], v6
	v_mov_b32_e32 v11, s3
	v_addc_co_u32_e32 v5, vcc, v5, v11, vcc
	v_mul_f64 v[0:1], v[0:1], s[4:5]
	v_mul_f64 v[6:7], v[6:7], s[4:5]
	v_cvt_f32_f64_e32 v0, v[0:1]
	v_cvt_f32_f64_e32 v1, v[6:7]
	global_store_dwordx2 v[4:5], v[0:1], off
	global_load_dwordx2 v[0:1], v64, s[6:7] offset:144
	v_add_co_u32_e32 v4, vcc, s2, v4
	s_waitcnt vmcnt(0)
	v_mul_f32_e32 v6, v3, v1
	v_mul_f32_e32 v1, v2, v1
	v_fmac_f32_e32 v6, v2, v0
	v_fma_f32 v2, v0, v3, -v1
	v_cvt_f64_f32_e32 v[0:1], v6
	v_cvt_f64_f32_e32 v[2:3], v2
	v_mov_b32_e32 v6, s3
	v_addc_co_u32_e32 v5, vcc, v5, v6, vcc
	v_mul_f64 v[0:1], v[0:1], s[4:5]
	v_mul_f64 v[2:3], v[2:3], s[4:5]
	v_cvt_f32_f64_e32 v0, v[0:1]
	v_cvt_f32_f64_e32 v1, v[2:3]
	global_store_dwordx2 v[4:5], v[0:1], off
	global_load_dwordx2 v[6:7], v64, s[6:7] offset:216
	ds_read2_b64 v[0:3], v10 offset0:27 offset1:36
	v_add_co_u32_e32 v4, vcc, s2, v4
	s_waitcnt vmcnt(0) lgkmcnt(0)
	v_mul_f32_e32 v11, v1, v7
	v_mul_f32_e32 v7, v0, v7
	v_fmac_f32_e32 v11, v0, v6
	v_fma_f32 v6, v6, v1, -v7
	v_cvt_f64_f32_e32 v[0:1], v11
	v_cvt_f64_f32_e32 v[6:7], v6
	v_mov_b32_e32 v11, s3
	v_addc_co_u32_e32 v5, vcc, v5, v11, vcc
	v_mul_f64 v[0:1], v[0:1], s[4:5]
	v_mul_f64 v[6:7], v[6:7], s[4:5]
	v_cvt_f32_f64_e32 v0, v[0:1]
	v_cvt_f32_f64_e32 v1, v[6:7]
	global_store_dwordx2 v[4:5], v[0:1], off
	global_load_dwordx2 v[0:1], v64, s[6:7] offset:288
	v_add_co_u32_e32 v4, vcc, s2, v4
	s_waitcnt vmcnt(0)
	v_mul_f32_e32 v6, v3, v1
	v_mul_f32_e32 v1, v2, v1
	v_fmac_f32_e32 v6, v2, v0
	v_fma_f32 v2, v0, v3, -v1
	v_cvt_f64_f32_e32 v[0:1], v6
	v_cvt_f64_f32_e32 v[2:3], v2
	v_mov_b32_e32 v6, s3
	v_addc_co_u32_e32 v5, vcc, v5, v6, vcc
	v_mul_f64 v[0:1], v[0:1], s[4:5]
	v_mul_f64 v[2:3], v[2:3], s[4:5]
	v_cvt_f32_f64_e32 v0, v[0:1]
	v_cvt_f32_f64_e32 v1, v[2:3]
	;; [unrolled: 33-line block ×7, first 2 shown]
	global_store_dwordx2 v[4:5], v[0:1], off
	global_load_dwordx2 v[6:7], v64, s[6:7] offset:1080
	ds_read2_b64 v[0:3], v10 offset0:135 offset1:144
	v_add_co_u32_e32 v4, vcc, s2, v4
	s_waitcnt vmcnt(0) lgkmcnt(0)
	v_mul_f32_e32 v10, v1, v7
	v_mul_f32_e32 v7, v0, v7
	v_fmac_f32_e32 v10, v0, v6
	v_fma_f32 v6, v6, v1, -v7
	v_cvt_f64_f32_e32 v[0:1], v10
	v_cvt_f64_f32_e32 v[6:7], v6
	v_mov_b32_e32 v10, s3
	v_addc_co_u32_e32 v5, vcc, v5, v10, vcc
	v_mul_f64 v[0:1], v[0:1], s[4:5]
	v_mul_f64 v[6:7], v[6:7], s[4:5]
	v_cvt_f32_f64_e32 v0, v[0:1]
	v_cvt_f32_f64_e32 v1, v[6:7]
	v_or_b32_e32 v6, 0x90, v63
	global_store_dwordx2 v[4:5], v[0:1], off
	global_load_dwordx2 v[0:1], v64, s[6:7] offset:1152
	v_mad_u64_u32 v[4:5], s[2:3], s0, v6, 0
	v_mad_u64_u32 v[5:6], s[0:1], s1, v6, v[5:6]
	v_lshlrev_b64 v[4:5], 3, v[4:5]
	s_waitcnt vmcnt(0)
	v_mul_f32_e32 v7, v3, v1
	v_mul_f32_e32 v1, v2, v1
	v_fmac_f32_e32 v7, v2, v0
	v_fma_f32 v2, v0, v3, -v1
	v_cvt_f64_f32_e32 v[0:1], v7
	v_cvt_f64_f32_e32 v[2:3], v2
	v_mul_f64 v[0:1], v[0:1], s[4:5]
	v_mul_f64 v[2:3], v[2:3], s[4:5]
	v_cvt_f32_f64_e32 v0, v[0:1]
	v_cvt_f32_f64_e32 v1, v[2:3]
	v_add_co_u32_e32 v2, vcc, v8, v4
	v_addc_co_u32_e32 v3, vcc, v9, v5, vcc
	global_store_dwordx2 v[2:3], v[0:1], off
.LBB0_15:
	s_endpgm
	.section	.rodata,"a",@progbits
	.p2align	6, 0x0
	.amdhsa_kernel bluestein_single_back_len153_dim1_sp_op_CI_CI
		.amdhsa_group_segment_fixed_size 8568
		.amdhsa_private_segment_fixed_size 0
		.amdhsa_kernarg_size 104
		.amdhsa_user_sgpr_count 6
		.amdhsa_user_sgpr_private_segment_buffer 1
		.amdhsa_user_sgpr_dispatch_ptr 0
		.amdhsa_user_sgpr_queue_ptr 0
		.amdhsa_user_sgpr_kernarg_segment_ptr 1
		.amdhsa_user_sgpr_dispatch_id 0
		.amdhsa_user_sgpr_flat_scratch_init 0
		.amdhsa_user_sgpr_private_segment_size 0
		.amdhsa_uses_dynamic_stack 0
		.amdhsa_system_sgpr_private_segment_wavefront_offset 0
		.amdhsa_system_sgpr_workgroup_id_x 1
		.amdhsa_system_sgpr_workgroup_id_y 0
		.amdhsa_system_sgpr_workgroup_id_z 0
		.amdhsa_system_sgpr_workgroup_info 0
		.amdhsa_system_vgpr_workitem_id 0
		.amdhsa_next_free_vgpr 256
		.amdhsa_next_free_sgpr 18
		.amdhsa_reserve_vcc 1
		.amdhsa_reserve_flat_scratch 0
		.amdhsa_float_round_mode_32 0
		.amdhsa_float_round_mode_16_64 0
		.amdhsa_float_denorm_mode_32 3
		.amdhsa_float_denorm_mode_16_64 3
		.amdhsa_dx10_clamp 1
		.amdhsa_ieee_mode 1
		.amdhsa_fp16_overflow 0
		.amdhsa_exception_fp_ieee_invalid_op 0
		.amdhsa_exception_fp_denorm_src 0
		.amdhsa_exception_fp_ieee_div_zero 0
		.amdhsa_exception_fp_ieee_overflow 0
		.amdhsa_exception_fp_ieee_underflow 0
		.amdhsa_exception_fp_ieee_inexact 0
		.amdhsa_exception_int_div_zero 0
	.end_amdhsa_kernel
	.text
.Lfunc_end0:
	.size	bluestein_single_back_len153_dim1_sp_op_CI_CI, .Lfunc_end0-bluestein_single_back_len153_dim1_sp_op_CI_CI
                                        ; -- End function
	.section	.AMDGPU.csdata,"",@progbits
; Kernel info:
; codeLenInByte = 16160
; NumSgprs: 22
; NumVgprs: 256
; ScratchSize: 0
; MemoryBound: 0
; FloatMode: 240
; IeeeMode: 1
; LDSByteSize: 8568 bytes/workgroup (compile time only)
; SGPRBlocks: 2
; VGPRBlocks: 63
; NumSGPRsForWavesPerEU: 22
; NumVGPRsForWavesPerEU: 256
; Occupancy: 1
; WaveLimiterHint : 1
; COMPUTE_PGM_RSRC2:SCRATCH_EN: 0
; COMPUTE_PGM_RSRC2:USER_SGPR: 6
; COMPUTE_PGM_RSRC2:TRAP_HANDLER: 0
; COMPUTE_PGM_RSRC2:TGID_X_EN: 1
; COMPUTE_PGM_RSRC2:TGID_Y_EN: 0
; COMPUTE_PGM_RSRC2:TGID_Z_EN: 0
; COMPUTE_PGM_RSRC2:TIDIG_COMP_CNT: 0
	.type	__hip_cuid_49e300a26931cad4,@object ; @__hip_cuid_49e300a26931cad4
	.section	.bss,"aw",@nobits
	.globl	__hip_cuid_49e300a26931cad4
__hip_cuid_49e300a26931cad4:
	.byte	0                               ; 0x0
	.size	__hip_cuid_49e300a26931cad4, 1

	.ident	"AMD clang version 19.0.0git (https://github.com/RadeonOpenCompute/llvm-project roc-6.4.0 25133 c7fe45cf4b819c5991fe208aaa96edf142730f1d)"
	.section	".note.GNU-stack","",@progbits
	.addrsig
	.addrsig_sym __hip_cuid_49e300a26931cad4
	.amdgpu_metadata
---
amdhsa.kernels:
  - .args:
      - .actual_access:  read_only
        .address_space:  global
        .offset:         0
        .size:           8
        .value_kind:     global_buffer
      - .actual_access:  read_only
        .address_space:  global
        .offset:         8
        .size:           8
        .value_kind:     global_buffer
      - .actual_access:  read_only
        .address_space:  global
        .offset:         16
        .size:           8
        .value_kind:     global_buffer
      - .actual_access:  read_only
        .address_space:  global
        .offset:         24
        .size:           8
        .value_kind:     global_buffer
      - .actual_access:  read_only
        .address_space:  global
        .offset:         32
        .size:           8
        .value_kind:     global_buffer
      - .offset:         40
        .size:           8
        .value_kind:     by_value
      - .address_space:  global
        .offset:         48
        .size:           8
        .value_kind:     global_buffer
      - .address_space:  global
        .offset:         56
        .size:           8
        .value_kind:     global_buffer
      - .address_space:  global
        .offset:         64
        .size:           8
        .value_kind:     global_buffer
      - .address_space:  global
        .offset:         72
        .size:           8
        .value_kind:     global_buffer
      - .offset:         80
        .size:           4
        .value_kind:     by_value
      - .address_space:  global
        .offset:         88
        .size:           8
        .value_kind:     global_buffer
      - .address_space:  global
        .offset:         96
        .size:           8
        .value_kind:     global_buffer
    .group_segment_fixed_size: 8568
    .kernarg_segment_align: 8
    .kernarg_segment_size: 104
    .language:       OpenCL C
    .language_version:
      - 2
      - 0
    .max_flat_workgroup_size: 119
    .name:           bluestein_single_back_len153_dim1_sp_op_CI_CI
    .private_segment_fixed_size: 0
    .sgpr_count:     22
    .sgpr_spill_count: 0
    .symbol:         bluestein_single_back_len153_dim1_sp_op_CI_CI.kd
    .uniform_work_group_size: 1
    .uses_dynamic_stack: false
    .vgpr_count:     256
    .vgpr_spill_count: 0
    .wavefront_size: 64
amdhsa.target:   amdgcn-amd-amdhsa--gfx906
amdhsa.version:
  - 1
  - 2
...

	.end_amdgpu_metadata
